;; amdgpu-corpus repo=ROCm/rocFFT kind=compiled arch=gfx1201 opt=O3
	.text
	.amdgcn_target "amdgcn-amd-amdhsa--gfx1201"
	.amdhsa_code_object_version 6
	.protected	bluestein_single_fwd_len968_dim1_half_op_CI_CI ; -- Begin function bluestein_single_fwd_len968_dim1_half_op_CI_CI
	.globl	bluestein_single_fwd_len968_dim1_half_op_CI_CI
	.p2align	8
	.type	bluestein_single_fwd_len968_dim1_half_op_CI_CI,@function
bluestein_single_fwd_len968_dim1_half_op_CI_CI: ; @bluestein_single_fwd_len968_dim1_half_op_CI_CI
; %bb.0:
	s_load_b128 s[8:11], s[0:1], 0x28
	v_mul_u32_u24_e32 v1, 0x2e9, v0
	v_mov_b32_e32 v19, 0
	s_mov_b32 s2, exec_lo
	s_delay_alu instid0(VALU_DEP_2) | instskip(NEXT) | instid1(VALU_DEP_1)
	v_lshrrev_b32_e32 v2, 16, v1
	v_lshl_add_u32 v18, ttmp9, 1, v2
	s_wait_kmcnt 0x0
	s_delay_alu instid0(VALU_DEP_1)
	v_cmpx_gt_u64_e64 s[8:9], v[18:19]
	s_cbranch_execz .LBB0_31
; %bb.1:
	s_clause 0x1
	s_load_b128 s[4:7], s[0:1], 0x18
	s_load_b64 s[16:17], s[0:1], 0x0
	v_mul_lo_u16 v1, 0x58, v2
	s_movk_i32 s2, 0xfe74
	s_mov_b32 s3, -1
	s_delay_alu instid0(VALU_DEP_1) | instskip(NEXT) | instid1(VALU_DEP_1)
	v_sub_nc_u16 v8, v0, v1
	v_and_b32_e32 v47, 0xffff, v8
	s_wait_kmcnt 0x0
	s_load_b128 s[12:15], s[4:5], 0x0
	s_wait_kmcnt 0x0
	v_mad_co_u64_u32 v[0:1], null, s14, v18, 0
	v_mad_co_u64_u32 v[3:4], null, s12, v47, 0
	s_mul_u64 s[4:5], s[12:13], 0x1e4
	s_mul_u64 s[2:3], s[12:13], s[2:3]
	s_delay_alu instid0(SALU_CYCLE_1) | instskip(NEXT) | instid1(VALU_DEP_2)
	s_lshl_b64 s[2:3], s[2:3], 2
	v_mad_co_u64_u32 v[5:6], null, s15, v18, v[1:2]
	v_and_b32_e32 v2, 1, v2
	s_delay_alu instid0(VALU_DEP_2) | instskip(SKIP_1) | instid1(VALU_DEP_1)
	v_mad_co_u64_u32 v[6:7], null, s13, v47, v[4:5]
	v_mov_b32_e32 v1, v5
	v_lshlrev_b64_e32 v[0:1], 2, v[0:1]
	s_delay_alu instid0(VALU_DEP_3)
	v_mov_b32_e32 v4, v6
	v_lshlrev_b32_e32 v56, 2, v47
	s_clause 0x2
	global_load_b32 v50, v56, s[16:17] offset:1936
	global_load_b32 v45, v56, s[16:17] offset:2288
	;; [unrolled: 1-line block ×3, first 2 shown]
	v_lshlrev_b64_e32 v[3:4], 2, v[3:4]
	s_clause 0x6
	global_load_b32 v52, v56, s[16:17]
	global_load_b32 v49, v56, s[16:17] offset:352
	global_load_b32 v44, v56, s[16:17] offset:704
	;; [unrolled: 1-line block ×6, first 2 shown]
	v_add_co_u32 v0, vcc_lo, s10, v0
	v_add_co_ci_u32_e32 v1, vcc_lo, s11, v1, vcc_lo
	s_lshl_b64 s[10:11], s[4:5], 2
	s_delay_alu instid0(VALU_DEP_2) | instskip(SKIP_1) | instid1(VALU_DEP_2)
	v_add_co_u32 v0, vcc_lo, v0, v3
	s_wait_alu 0xfffd
	v_add_co_ci_u32_e32 v1, vcc_lo, v1, v4, vcc_lo
	v_add_co_u32 v16, s12, s16, v56
	s_wait_alu 0xfffe
	v_add_co_u32 v3, vcc_lo, v0, s10
	s_wait_alu 0xfffd
	v_add_co_ci_u32_e32 v4, vcc_lo, s11, v1, vcc_lo
	global_load_b32 v6, v[0:1], off
	s_wait_alu 0xf1ff
	v_add_co_ci_u32_e64 v17, null, s17, 0, s12
	global_load_b32 v7, v[3:4], off
	v_add_co_u32 v0, vcc_lo, v3, s2
	s_wait_alu 0xfffd
	v_add_co_ci_u32_e32 v1, vcc_lo, s3, v4, vcc_lo
	s_delay_alu instid0(VALU_DEP_2) | instskip(SKIP_1) | instid1(VALU_DEP_2)
	v_add_co_u32 v3, vcc_lo, v0, s10
	s_wait_alu 0xfffd
	v_add_co_ci_u32_e32 v4, vcc_lo, s11, v1, vcc_lo
	global_load_b32 v9, v[0:1], off
	v_add_co_u32 v0, vcc_lo, v3, s2
	s_wait_alu 0xfffd
	v_add_co_ci_u32_e32 v1, vcc_lo, s3, v4, vcc_lo
	s_clause 0x1
	global_load_b32 v10, v[3:4], off
	global_load_b32 v11, v[0:1], off
	v_add_co_u32 v0, vcc_lo, v0, s10
	s_wait_alu 0xfffd
	v_add_co_ci_u32_e32 v1, vcc_lo, s11, v1, vcc_lo
	s_delay_alu instid0(VALU_DEP_2) | instskip(SKIP_1) | instid1(VALU_DEP_2)
	v_add_co_u32 v3, vcc_lo, v0, s2
	s_wait_alu 0xfffd
	v_add_co_ci_u32_e32 v4, vcc_lo, s3, v1, vcc_lo
	global_load_b32 v12, v[0:1], off
	v_add_co_u32 v0, vcc_lo, v3, s10
	s_wait_alu 0xfffd
	v_add_co_ci_u32_e32 v1, vcc_lo, s11, v4, vcc_lo
	global_load_b32 v13, v[3:4], off
	;; [unrolled: 4-line block ×4, first 2 shown]
	global_load_b32 v15, v[0:1], off
	v_cmp_eq_u32_e32 vcc_lo, 1, v2
	s_load_b64 s[8:9], s[0:1], 0x38
	s_load_b128 s[4:7], s[6:7], 0x0
	v_cndmask_b32_e64 v55, 0, 0xf20, vcc_lo
	v_cmp_gt_u16_e32 vcc_lo, 44, v8
	s_delay_alu instid0(VALU_DEP_2) | instskip(NEXT) | instid1(VALU_DEP_1)
	v_add_nc_u32_e32 v33, v55, v56
	v_add_nc_u32_e32 v5, 0x800, v33
	;; [unrolled: 1-line block ×3, first 2 shown]
	s_wait_loadcnt 0x10
	v_lshrrev_b32_e32 v54, 16, v52
	v_lshrrev_b32_e32 v53, 16, v50
	s_wait_loadcnt 0xf
	v_lshrrev_b32_e32 v51, 16, v49
	v_lshrrev_b32_e32 v48, 16, v45
	;; [unrolled: 3-line block ×3, first 2 shown]
	s_wait_loadcnt 0xd
	v_lshrrev_b32_e32 v41, 16, v40
	s_wait_loadcnt 0xc
	v_lshrrev_b32_e32 v39, 16, v38
	;; [unrolled: 2-line block ×5, first 2 shown]
	v_mul_f16_e32 v19, v54, v6
	s_wait_loadcnt 0x8
	v_lshrrev_b32_e32 v21, 16, v7
	v_mul_f16_e32 v22, v53, v7
	v_mul_f16_e32 v20, v54, v2
	v_fma_f16 v2, v52, v2, -v19
	s_delay_alu instid0(VALU_DEP_2)
	v_fmac_f16_e32 v20, v52, v6
	v_mul_f16_e32 v6, v53, v21
	v_fma_f16 v21, v50, v21, -v22
	s_wait_loadcnt 0x7
	v_lshrrev_b32_e32 v19, 16, v9
	v_mul_f16_e32 v22, v51, v9
	v_pack_b32_f16 v2, v20, v2
	v_fmac_f16_e32 v6, v50, v7
	s_delay_alu instid0(VALU_DEP_4)
	v_mul_f16_e32 v7, v51, v19
	s_wait_loadcnt 0x6
	v_lshrrev_b32_e32 v20, 16, v10
	v_fma_f16 v19, v49, v19, -v22
	v_pack_b32_f16 v6, v6, v21
	s_wait_loadcnt 0x5
	v_lshrrev_b32_e32 v21, 16, v11
	v_fmac_f16_e32 v7, v49, v9
	v_mul_f16_e32 v23, v48, v10
	v_mul_f16_e32 v9, v48, v20
	;; [unrolled: 1-line block ×3, first 2 shown]
	ds_store_b32 v33, v6 offset:1936
	v_pack_b32_f16 v6, v7, v19
	v_mul_f16_e32 v7, v46, v21
	v_fma_f16 v20, v45, v20, -v23
	v_fmac_f16_e32 v9, v45, v10
	v_fma_f16 v10, v44, v21, -v22
	s_wait_loadcnt 0x4
	v_lshrrev_b32_e32 v19, 16, v12
	v_mul_f16_e32 v21, v43, v12
	ds_store_2addr_b32 v33, v2, v6 offset1:88
	v_fmac_f16_e32 v7, v44, v11
	s_wait_loadcnt 0x3
	v_lshrrev_b32_e32 v6, 16, v13
	v_pack_b32_f16 v2, v9, v20
	v_mul_f16_e32 v9, v43, v19
	v_fma_f16 v11, v42, v19, -v21
	v_mul_f16_e32 v19, v41, v13
	v_pack_b32_f16 v7, v7, v10
	v_mul_f16_e32 v10, v41, v6
	v_fmac_f16_e32 v9, v42, v12
	s_wait_loadcnt 0x2
	v_lshrrev_b32_e32 v12, 16, v14
	v_fma_f16 v6, v40, v6, -v19
	v_mul_f16_e32 v19, v39, v14
	v_fmac_f16_e32 v10, v40, v13
	s_wait_loadcnt 0x1
	v_lshrrev_b32_e32 v13, 16, v3
	s_wait_loadcnt 0x0
	v_lshrrev_b32_e32 v21, 16, v15
	v_mul_f16_e32 v20, v39, v12
	v_fma_f16 v12, v38, v12, -v19
	v_mul_f16_e32 v19, v37, v3
	v_mul_f16_e32 v22, v37, v13
	;; [unrolled: 1-line block ×4, first 2 shown]
	v_fmac_f16_e32 v20, v38, v14
	v_fma_f16 v13, v36, v13, -v19
	v_fmac_f16_e32 v22, v36, v3
	v_fma_f16 v3, v34, v21, -v23
	v_fmac_f16_e32 v24, v34, v15
	v_pack_b32_f16 v9, v9, v11
	v_pack_b32_f16 v6, v10, v6
	v_add_nc_u32_e32 v10, 0xa00, v33
	v_pack_b32_f16 v11, v20, v12
	v_pack_b32_f16 v12, v22, v13
	;; [unrolled: 1-line block ×3, first 2 shown]
	ds_store_2addr_b32 v5, v2, v9 offset0:60 offset1:148
	ds_store_2addr_b32 v4, v7, v6 offset0:48 offset1:136
	ds_store_b32 v33, v12 offset:1408
	ds_store_2addr_b32 v10, v11, v3 offset0:108 offset1:196
	s_and_saveexec_b32 s12, vcc_lo
	s_cbranch_execz .LBB0_3
; %bb.2:
	v_add_co_u32 v0, s2, v0, s2
	s_wait_alu 0xf1ff
	v_add_co_ci_u32_e64 v1, s2, s3, v1, s2
	s_delay_alu instid0(VALU_DEP_2) | instskip(SKIP_1) | instid1(VALU_DEP_2)
	v_add_co_u32 v2, s2, v0, s10
	s_wait_alu 0xf1ff
	v_add_co_ci_u32_e64 v3, s2, s11, v1, s2
	s_clause 0x1
	global_load_b32 v6, v[16:17], off offset:1760
	global_load_b32 v7, v[16:17], off offset:3696
	global_load_b32 v0, v[0:1], off
	global_load_b32 v1, v[2:3], off
	s_wait_loadcnt 0x3
	v_lshrrev_b32_e32 v2, 16, v6
	s_wait_loadcnt 0x2
	v_lshrrev_b32_e32 v3, 16, v7
	;; [unrolled: 2-line block ×4, first 2 shown]
	v_mul_f16_e32 v11, v2, v0
	s_delay_alu instid0(VALU_DEP_3) | instskip(NEXT) | instid1(VALU_DEP_3)
	v_mul_f16_e32 v2, v2, v8
	v_mul_f16_e32 v12, v3, v9
	;; [unrolled: 1-line block ×3, first 2 shown]
	s_delay_alu instid0(VALU_DEP_4) | instskip(NEXT) | instid1(VALU_DEP_4)
	v_fma_f16 v8, v6, v8, -v11
	v_fmac_f16_e32 v2, v6, v0
	s_delay_alu instid0(VALU_DEP_4) | instskip(NEXT) | instid1(VALU_DEP_4)
	v_fmac_f16_e32 v12, v7, v1
	v_fma_f16 v0, v7, v9, -v3
	s_delay_alu instid0(VALU_DEP_3) | instskip(NEXT) | instid1(VALU_DEP_2)
	v_pack_b32_f16 v1, v2, v8
	v_pack_b32_f16 v0, v12, v0
	ds_store_b32 v33, v1 offset:1760
	ds_store_b32 v33, v0 offset:3696
.LBB0_3:
	s_wait_alu 0xfffe
	s_or_b32 exec_lo, exec_lo, s12
	v_add_nc_u32_e32 v0, 0x400, v33
	global_wb scope:SCOPE_SE
	s_wait_dscnt 0x0
	s_wait_kmcnt 0x0
	s_barrier_signal -1
	s_barrier_wait -1
	global_inv scope:SCOPE_SE
	ds_load_2addr_b32 v[6:7], v33 offset1:88
	ds_load_2addr_b32 v[2:3], v0 offset0:96 offset1:228
	ds_load_2addr_b32 v[8:9], v5 offset0:60 offset1:148
	;; [unrolled: 1-line block ×4, first 2 shown]
                                        ; implicit-def: $vgpr0
                                        ; implicit-def: $vgpr1
	s_and_saveexec_b32 s2, vcc_lo
	s_cbranch_execz .LBB0_5
; %bb.4:
	ds_load_b32 v0, v33 offset:1760
	ds_load_b32 v1, v33 offset:3696
.LBB0_5:
	s_wait_alu 0xfffe
	s_or_b32 exec_lo, exec_lo, s2
	s_load_b64 s[0:1], s[0:1], 0x8
	s_wait_dscnt 0x3
	v_pk_add_f16 v15, v6, v3 neg_lo:[0,1] neg_hi:[0,1]
	v_lshlrev_b32_e32 v12, 1, v47
	v_lshl_add_u32 v61, v47, 3, v55
	v_add_co_u32 v20, null, 0x1b8, v47
	s_delay_alu instid0(VALU_DEP_4)
	v_pk_fma_f16 v14, v6, 2.0, v15 op_sel_hi:[1,0,1] neg_lo:[0,0,1] neg_hi:[0,0,1]
	s_wait_dscnt 0x0
	v_pk_add_f16 v1, v0, v1 neg_lo:[0,1] neg_hi:[0,1]
	v_pk_add_f16 v8, v7, v8 neg_lo:[0,1] neg_hi:[0,1]
	global_wb scope:SCOPE_SE
	s_wait_kmcnt 0x0
	s_barrier_signal -1
	v_add_nc_u32_e32 v13, 0xb0, v12
	s_barrier_wait -1
	global_inv scope:SCOPE_SE
	ds_store_b64 v61, v[14:15]
	v_add_nc_u32_e32 v14, 0x160, v12
	v_add_nc_u32_e32 v15, 0x210, v12
	;; [unrolled: 1-line block ×3, first 2 shown]
	v_pk_add_f16 v22, v4, v9 neg_lo:[0,1] neg_hi:[0,1]
	v_pk_add_f16 v10, v5, v10 neg_lo:[0,1] neg_hi:[0,1]
	;; [unrolled: 1-line block ×3, first 2 shown]
	v_pk_fma_f16 v0, v0, 2.0, v1 op_sel_hi:[1,0,1] neg_lo:[0,0,1] neg_hi:[0,0,1]
	v_lshl_add_u32 v63, v13, 2, v55
	v_pk_fma_f16 v7, v7, 2.0, v8 op_sel_hi:[1,0,1] neg_lo:[0,0,1] neg_hi:[0,0,1]
	v_lshl_add_u32 v65, v14, 2, v55
	v_lshl_add_u32 v67, v15, 2, v55
	;; [unrolled: 1-line block ×4, first 2 shown]
	v_pk_fma_f16 v21, v4, 2.0, v22 op_sel_hi:[1,0,1] neg_lo:[0,0,1] neg_hi:[0,0,1]
	v_pk_fma_f16 v9, v5, 2.0, v10 op_sel_hi:[1,0,1] neg_lo:[0,0,1] neg_hi:[0,0,1]
	;; [unrolled: 1-line block ×3, first 2 shown]
	ds_store_b64 v63, v[7:8]
	ds_store_b64 v65, v[21:22]
	;; [unrolled: 1-line block ×4, first 2 shown]
	s_and_saveexec_b32 s2, vcc_lo
	s_cbranch_execz .LBB0_7
; %bb.6:
	ds_store_b64 v64, v[0:1]
.LBB0_7:
	s_wait_alu 0xfffe
	s_or_b32 exec_lo, exec_lo, s2
	v_add_nc_u32_e32 v2, 0x400, v33
	v_add_nc_u32_e32 v4, 0x800, v33
	;; [unrolled: 1-line block ×4, first 2 shown]
	global_wb scope:SCOPE_SE
	s_wait_dscnt 0x0
	s_barrier_signal -1
	s_barrier_wait -1
	global_inv scope:SCOPE_SE
	ds_load_2addr_b32 v[6:7], v33 offset1:88
	ds_load_2addr_b32 v[2:3], v2 offset0:96 offset1:228
	ds_load_2addr_b32 v[10:11], v4 offset0:60 offset1:148
	;; [unrolled: 1-line block ×4, first 2 shown]
	s_and_saveexec_b32 s2, vcc_lo
	s_cbranch_execz .LBB0_9
; %bb.8:
	ds_load_b32 v0, v33 offset:1760
	ds_load_b32 v1, v33 offset:3696
.LBB0_9:
	s_wait_alu 0xfffe
	s_or_b32 exec_lo, exec_lo, s2
	v_and_b32_e32 v58, 1, v47
	v_lshlrev_b32_e32 v57, 1, v20
	s_wait_dscnt 0x2
	v_lshrrev_b32_e32 v24, 16, v10
	v_lshrrev_b32_e32 v26, 16, v11
	s_wait_dscnt 0x0
	v_lshrrev_b32_e32 v28, 16, v8
	v_lshlrev_b32_e32 v21, 2, v58
	v_and_or_b32 v20, 0xfc, v12, v58
	v_and_or_b32 v60, 0x1fc, v13, v58
	;; [unrolled: 1-line block ×3, first 2 shown]
	v_lshrrev_b32_e32 v30, 16, v9
	global_load_b32 v59, v21, s[0:1]
	v_lshrrev_b32_e32 v21, 16, v3
	v_lshrrev_b32_e32 v31, 16, v1
	v_lshl_add_u32 v68, v20, 2, v55
	v_lshl_add_u32 v69, v60, 2, v55
	;; [unrolled: 1-line block ×3, first 2 shown]
	v_lshrrev_b32_e32 v22, 16, v6
	v_lshrrev_b32_e32 v23, 16, v7
	;; [unrolled: 1-line block ×6, first 2 shown]
	v_and_or_b32 v71, 0x3fc, v15, v58
	v_and_or_b32 v72, 0x3fc, v19, v58
	global_wb scope:SCOPE_SE
	s_wait_loadcnt 0x0
	s_barrier_signal -1
	s_barrier_wait -1
	v_lshl_add_u32 v71, v71, 2, v55
	v_lshl_add_u32 v72, v72, 2, v55
	global_inv scope:SCOPE_SE
	v_lshrrev_b32_e32 v73, 16, v59
	s_delay_alu instid0(VALU_DEP_1)
	v_mul_f16_e32 v20, v21, v73
	v_mul_f16_e32 v60, v3, v73
	;; [unrolled: 1-line block ×12, first 2 shown]
	v_fma_f16 v3, v3, v59, -v20
	v_fmac_f16_e32 v60, v21, v59
	v_fma_f16 v10, v10, v59, -v62
	v_fmac_f16_e32 v74, v24, v59
	;; [unrolled: 2-line block ×6, first 2 shown]
	v_sub_f16_e32 v3, v6, v3
	v_sub_f16_e32 v24, v22, v60
	;; [unrolled: 1-line block ×12, first 2 shown]
	v_fma_f16 v1, v6, 2.0, -v3
	v_fma_f16 v6, v22, 2.0, -v24
	;; [unrolled: 1-line block ×12, first 2 shown]
	v_pack_b32_f16 v0, v3, v24
	v_pack_b32_f16 v1, v1, v6
	;; [unrolled: 1-line block ×10, first 2 shown]
	ds_store_2addr_b32 v68, v1, v0 offset1:2
	ds_store_2addr_b32 v69, v6, v3 offset1:2
	;; [unrolled: 1-line block ×5, first 2 shown]
	s_and_saveexec_b32 s2, vcc_lo
	s_cbranch_execz .LBB0_11
; %bb.10:
	v_and_or_b32 v0, 0x3fc, v57, v58
	v_perm_b32 v1, v11, v10, 0x5040100
	v_perm_b32 v2, v21, v20, 0x5040100
	s_delay_alu instid0(VALU_DEP_3)
	v_lshl_add_u32 v0, v0, 2, v55
	ds_store_2addr_b32 v0, v1, v2 offset1:2
.LBB0_11:
	s_wait_alu 0xfffe
	s_or_b32 exec_lo, exec_lo, s2
	v_add_nc_u32_e32 v0, 0x400, v33
	v_add_nc_u32_e32 v2, 0x800, v33
	;; [unrolled: 1-line block ×4, first 2 shown]
	global_wb scope:SCOPE_SE
	s_wait_dscnt 0x0
	s_barrier_signal -1
	s_barrier_wait -1
	global_inv scope:SCOPE_SE
	ds_load_2addr_b32 v[4:5], v33 offset1:88
	ds_load_2addr_b32 v[0:1], v0 offset0:96 offset1:228
	ds_load_2addr_b32 v[8:9], v2 offset0:60 offset1:148
	ds_load_2addr_b32 v[2:3], v3 offset0:48 offset1:136
	ds_load_2addr_b32 v[6:7], v6 offset0:108 offset1:196
	s_and_saveexec_b32 s2, vcc_lo
	s_cbranch_execz .LBB0_13
; %bb.12:
	ds_load_b32 v10, v33 offset:1760
	ds_load_b32 v20, v33 offset:3696
	s_wait_dscnt 0x1
	v_lshrrev_b32_e32 v11, 16, v10
	s_wait_dscnt 0x0
	v_lshrrev_b32_e32 v21, 16, v20
.LBB0_13:
	s_wait_alu 0xfffe
	s_or_b32 exec_lo, exec_lo, s2
	v_and_b32_e32 v60, 3, v47
	s_wait_dscnt 0x3
	v_lshrrev_b32_e32 v23, 16, v1
	s_wait_dscnt 0x2
	v_lshrrev_b32_e32 v25, 16, v8
	v_lshrrev_b32_e32 v27, 16, v9
	s_wait_dscnt 0x0
	v_lshrrev_b32_e32 v29, 16, v6
	v_lshlrev_b32_e32 v22, 2, v60
	v_and_or_b32 v12, 0xf8, v12, v60
	v_and_or_b32 v13, 0x1f8, v13, v60
	;; [unrolled: 1-line block ×4, first 2 shown]
	global_load_b32 v62, v22, s[0:1] offset:8
	v_and_or_b32 v19, 0x3f8, v19, v60
	v_lshrrev_b32_e32 v31, 16, v7
	v_lshl_add_u32 v75, v12, 2, v55
	v_lshl_add_u32 v76, v13, 2, v55
	;; [unrolled: 1-line block ×5, first 2 shown]
	v_lshrrev_b32_e32 v22, 16, v4
	v_lshrrev_b32_e32 v24, 16, v5
	;; [unrolled: 1-line block ×5, first 2 shown]
	global_wb scope:SCOPE_SE
	s_wait_loadcnt 0x0
	s_barrier_signal -1
	s_barrier_wait -1
	global_inv scope:SCOPE_SE
	v_lshrrev_b32_e32 v74, 16, v62
	s_delay_alu instid0(VALU_DEP_1)
	v_mul_f16_e32 v12, v23, v74
	v_mul_f16_e32 v13, v1, v74
	;; [unrolled: 1-line block ×11, first 2 shown]
	v_fma_f16 v1, v1, v62, -v12
	v_fmac_f16_e32 v13, v23, v62
	v_fma_f16 v8, v8, v62, -v14
	v_fmac_f16_e32 v15, v25, v62
	;; [unrolled: 2-line block ×5, first 2 shown]
	v_mul_f16_e32 v85, v20, v74
	v_fma_f16 v12, v20, v62, -v84
	v_sub_f16_e32 v1, v4, v1
	v_sub_f16_e32 v13, v22, v13
	v_sub_f16_e32 v8, v5, v8
	v_sub_f16_e32 v14, v24, v15
	v_sub_f16_e32 v9, v2, v9
	v_sub_f16_e32 v15, v26, v32
	v_sub_f16_e32 v6, v3, v6
	v_sub_f16_e32 v19, v28, v81
	v_sub_f16_e32 v7, v0, v7
	v_sub_f16_e32 v20, v30, v83
	v_fmac_f16_e32 v85, v21, v62
	v_sub_f16_e32 v81, v10, v12
	v_fma_f16 v4, v4, 2.0, -v1
	v_fma_f16 v12, v22, 2.0, -v13
	;; [unrolled: 1-line block ×10, first 2 shown]
	v_sub_f16_e32 v82, v11, v85
	v_pack_b32_f16 v1, v1, v13
	v_pack_b32_f16 v4, v4, v12
	;; [unrolled: 1-line block ×10, first 2 shown]
	ds_store_2addr_b32 v75, v4, v1 offset1:4
	ds_store_2addr_b32 v76, v5, v8 offset1:4
	;; [unrolled: 1-line block ×5, first 2 shown]
	s_and_saveexec_b32 s2, vcc_lo
	s_cbranch_execz .LBB0_15
; %bb.14:
	v_fma_f16 v0, v10, 2.0, -v81
	v_and_or_b32 v1, 0x3f8, v57, v60
	v_fma_f16 v2, v11, 2.0, -v82
	s_delay_alu instid0(VALU_DEP_2) | instskip(NEXT) | instid1(VALU_DEP_2)
	v_lshl_add_u32 v1, v1, 2, v55
	v_pack_b32_f16 v0, v0, v2
	v_perm_b32 v2, v82, v81, 0x5040100
	ds_store_2addr_b32 v1, v0, v2 offset1:4
.LBB0_15:
	s_wait_alu 0xfffe
	s_or_b32 exec_lo, exec_lo, s2
	v_and_b32_e32 v13, 7, v47
	global_wb scope:SCOPE_SE
	s_wait_dscnt 0x0
	s_barrier_signal -1
	s_barrier_wait -1
	global_inv scope:SCOPE_SE
	v_mad_co_u64_u32 v[8:9], null, v13, 40, s[0:1]
	v_add_nc_u32_e32 v83, 0x200, v33
	v_add_nc_u32_e32 v84, 0x400, v33
	;; [unrolled: 1-line block ×4, first 2 shown]
	v_lshrrev_b32_e32 v25, 3, v47
	s_clause 0x2
	global_load_b128 v[4:7], v[8:9], off offset:24
	global_load_b128 v[0:3], v[8:9], off offset:40
	global_load_b64 v[19:20], v[8:9], off offset:56
	ds_load_2addr_b32 v[8:9], v33 offset1:88
	ds_load_b32 v12, v33 offset:3520
	ds_load_2addr_b32 v[10:11], v83 offset0:48 offset1:136
	ds_load_2addr_b32 v[14:15], v84 offset0:96 offset1:184
	;; [unrolled: 1-line block ×4, first 2 shown]
	v_mul_u32_u24_e32 v27, 0x58, v25
	v_mad_co_u64_u32 v[25:26], null, v47, 40, s[0:1]
	global_wb scope:SCOPE_SE
	s_wait_loadcnt_dscnt 0x0
	s_barrier_signal -1
	v_or_b32_e32 v13, v27, v13
	s_barrier_wait -1
	global_inv scope:SCOPE_SE
	s_add_nc_u64 s[0:1], s[16:17], 0xf20
	v_lshl_add_u32 v80, v13, 2, v55
	v_lshrrev_b32_e32 v27, 16, v9
	v_lshrrev_b32_e32 v28, 16, v12
	;; [unrolled: 1-line block ×16, first 2 shown]
	v_mul_f16_e32 v101, v27, v96
	v_mul_f16_e32 v102, v9, v96
	v_lshrrev_b32_e32 v92, 16, v0
	v_lshrrev_b32_e32 v90, 16, v2
	;; [unrolled: 1-line block ×3, first 2 shown]
	v_mul_f16_e32 v103, v29, v95
	v_mul_f16_e32 v104, v10, v95
	;; [unrolled: 1-line block ×4, first 2 shown]
	v_fma_f16 v9, v9, v4, -v101
	v_fmac_f16_e32 v102, v27, v4
	v_lshrrev_b32_e32 v93, 16, v7
	v_lshrrev_b32_e32 v91, 16, v1
	v_mul_f16_e32 v119, v28, v88
	v_mul_f16_e32 v105, v30, v94
	;; [unrolled: 1-line block ×7, first 2 shown]
	v_fma_f16 v10, v10, v5, -v103
	v_fmac_f16_e32 v104, v29, v5
	v_fma_f16 v24, v24, v19, -v117
	v_fmac_f16_e32 v120, v28, v20
	v_add_f16_e32 v27, v8, v9
	v_add_f16_e32 v28, v13, v102
	v_mul_f16_e32 v107, v31, v93
	v_mul_f16_e32 v108, v14, v93
	;; [unrolled: 1-line block ×7, first 2 shown]
	v_fma_f16 v12, v12, v20, -v119
	v_fma_f16 v11, v11, v6, -v105
	v_fmac_f16_e32 v106, v30, v6
	v_fmac_f16_e32 v110, v32, v0
	;; [unrolled: 1-line block ×3, first 2 shown]
	v_fma_f16 v23, v23, v3, -v115
	v_add_f16_e32 v32, v10, v24
	v_sub_f16_e32 v98, v10, v24
	v_add_f16_e32 v10, v27, v10
	v_add_f16_e32 v27, v28, v104
	v_fma_f16 v14, v14, v7, -v107
	v_fmac_f16_e32 v108, v31, v7
	v_fma_f16 v15, v15, v0, -v109
	v_fma_f16 v21, v21, v1, -v111
	v_fmac_f16_e32 v112, v97, v1
	v_fma_f16 v22, v22, v2, -v113
	v_fmac_f16_e32 v116, v99, v3
	v_fmac_f16_e32 v118, v100, v19
	v_add_f16_e32 v29, v9, v12
	v_sub_f16_e32 v9, v9, v12
	v_sub_f16_e32 v31, v102, v120
	v_add_f16_e32 v30, v102, v120
	v_add_f16_e32 v101, v11, v23
	v_sub_f16_e32 v102, v11, v23
	v_add_f16_e32 v10, v10, v11
	v_add_f16_e32 v11, v27, v106
	;; [unrolled: 1-line block ×3, first 2 shown]
	v_sub_f16_e32 v99, v104, v118
	v_sub_f16_e32 v100, v106, v116
	;; [unrolled: 1-line block ×6, first 2 shown]
	v_mul_f16_e32 v28, 0xb853, v31
	v_mul_f16_e32 v104, 0xb853, v9
	;; [unrolled: 1-line block ×10, first 2 shown]
	v_add_f16_e32 v10, v10, v14
	v_add_f16_e32 v11, v11, v108
	v_add_f16_e32 v103, v106, v116
	v_add_f16_e32 v107, v14, v22
	v_add_f16_e32 v111, v108, v114
	v_add_f16_e32 v115, v15, v21
	v_add_f16_e32 v119, v110, v112
	v_mul_f16_e32 v127, 0xbb47, v99
	v_mul_f16_e64 v128, 0xbb47, v98
	v_mul_f16_e64 v129, 0xba0c, v99
	;; [unrolled: 1-line block ×7, first 2 shown]
	v_mul_f16_e32 v99, 0x3853, v99
	v_mul_f16_e32 v98, 0x3853, v98
	v_mul_f16_e64 v135, 0xbbeb, v100
	v_mul_f16_e64 v136, 0x3482, v100
	v_mul_f16_e64 v137, 0x3b47, v100
	v_mul_f16_e64 v138, 0xb853, v100
	v_mul_f16_e32 v100, 0xba0c, v100
	v_mul_f16_e64 v139, 0xbbeb, v102
	v_mul_f16_e64 v140, 0x3482, v102
	v_mul_f16_e64 v141, 0x3b47, v102
	v_mul_f16_e64 v142, 0xb853, v102
	;; [unrolled: 5-line block ×6, first 2 shown]
	v_mul_f16_e32 v117, 0xbbeb, v117
	v_fma_f16 v159, v29, 0x3abb, -v28
	v_fma_f16 v160, 0x3abb, v30, v104
	v_fmac_f16_e32 v28, 0x3abb, v29
	v_fma_f16 v104, v30, 0x3abb, -v104
	v_fma_f16 v161, v29, 0x36a6, -v121
	v_fma_f16 v162, 0x36a6, v30, v122
	v_fmac_f16_e32 v121, 0x36a6, v29
	v_fma_f16 v122, v30, 0x36a6, -v122
	;; [unrolled: 4-line block ×5, first 2 shown]
	v_add_f16_e32 v10, v10, v15
	v_add_f16_e32 v11, v11, v110
	v_fma_f16 v29, v32, 0x36a6, -v127
	v_fma_f16 v30, 0x36a6, v97, v128
	v_fmac_f16_e32 v127, 0x36a6, v32
	v_fma_f16 v128, v97, 0x36a6, -v128
	v_fma_f16 v169, v32, 0xb93d, -v129
	v_fma_f16 v170, 0xb93d, v97, v130
	v_fmac_f16_e64 v129, 0xb93d, v32
	v_fma_f16 v130, v97, 0xb93d, -v130
	v_fma_f16 v171, v32, 0xbbad, -v131
	v_fma_f16 v172, 0xbbad, v97, v132
	v_fmac_f16_e64 v131, 0xbbad, v32
	;; [unrolled: 4-line block ×3, first 2 shown]
	v_fma_f16 v134, v97, 0xb08e, -v134
	v_fma_f16 v175, v32, 0x3abb, -v99
	v_fmac_f16_e32 v99, 0x3abb, v32
	v_fmamk_f16 v32, v97, 0x3abb, v98
	v_fma_f16 v97, v97, 0x3abb, -v98
	v_fma_f16 v98, v101, 0xb08e, -v135
	v_fmac_f16_e64 v135, 0xb08e, v101
	v_fma_f16 v176, v101, 0xbbad, -v136
	v_fmac_f16_e64 v136, 0xbbad, v101
	v_fma_f16 v177, v101, 0x36a6, -v137
	v_fmac_f16_e64 v137, 0x36a6, v101
	v_fma_f16 v178, v101, 0x3abb, -v138
	v_fmac_f16_e64 v138, 0x3abb, v101
	v_fma_f16 v179, v101, 0xb93d, -v100
	v_fmac_f16_e32 v100, 0xb93d, v101
	v_fma_f16 v27, 0xb08e, v103, v139
	v_fma_f16 v101, v103, 0xb08e, -v139
	v_fma_f16 v106, 0xbbad, v103, v140
	v_fma_f16 v139, v103, 0xbbad, -v140
	v_fma_f16 v140, 0x36a6, v103, v141
	v_fma_f16 v141, v103, 0x36a6, -v141
	v_fma_f16 v180, 0x3abb, v103, v142
	v_fma_f16 v142, v103, 0x3abb, -v142
	v_fma_f16 v181, 0xb93d, v103, v102
	v_fma_f16 v102, v103, 0xb93d, -v102
	v_fma_f16 v103, v107, 0xb93d, -v143
	v_fmac_f16_e64 v143, 0xb93d, v107
	v_fma_f16 v182, v107, 0xb08e, -v144
	v_fmac_f16_e64 v144, 0xb08e, v107
	v_fma_f16 v183, v107, 0x3abb, -v145
	v_fmac_f16_e64 v145, 0x3abb, v107
	v_fma_f16 v184, v107, 0xbbad, -v146
	v_fmac_f16_e64 v146, 0xbbad, v107
	v_fma_f16 v185, v107, 0x36a6, -v105
	v_fmac_f16_e32 v105, 0x36a6, v107
	v_fma_f16 v107, 0xb93d, v111, v147
	v_fma_f16 v147, v111, 0xb93d, -v147
	v_fma_f16 v186, 0xb08e, v111, v148
	v_fma_f16 v148, v111, 0xb08e, -v148
	v_fma_f16 v187, 0x3abb, v111, v149
	v_fma_f16 v149, v111, 0x3abb, -v149
	v_fma_f16 v188, 0xbbad, v111, v150
	v_fma_f16 v150, v111, 0xbbad, -v150
	v_fma_f16 v189, 0x36a6, v111, v109
	v_fma_f16 v109, v111, 0x36a6, -v109
	v_fma_f16 v111, v115, 0xbbad, -v151
	v_fmac_f16_e64 v151, 0xbbad, v115
	v_fma_f16 v190, v115, 0x3abb, -v152
	v_fmac_f16_e64 v152, 0x3abb, v115
	v_fma_f16 v191, v115, 0xb93d, -v153
	v_fmac_f16_e64 v153, 0xb93d, v115
	v_fma_f16 v192, v115, 0x36a6, -v154
	v_fmac_f16_e64 v154, 0x36a6, v115
	v_fma_f16 v193, v115, 0xb08e, -v113
	v_fmac_f16_e32 v113, 0xb08e, v115
	v_fma_f16 v115, 0xbbad, v119, v155
	v_fma_f16 v155, v119, 0xbbad, -v155
	v_fma_f16 v194, 0x3abb, v119, v156
	v_fma_f16 v156, v119, 0x3abb, -v156
	v_fma_f16 v195, 0xb93d, v119, v157
	v_fma_f16 v157, v119, 0xb93d, -v157
	v_fma_f16 v196, 0x36a6, v119, v158
	v_fma_f16 v158, v119, 0x36a6, -v158
	v_fma_f16 v197, 0xb08e, v119, v117
	v_fma_f16 v117, v119, 0xb08e, -v117
	v_add_f16_e64 v119, v8, v159
	v_add_f16_e32 v28, v8, v28
	v_add_f16_e64 v159, v8, v161
	v_add_f16_e32 v121, v8, v121
	v_add_f16_e64 v161, v8, v163
	v_add_f16_e32 v123, v8, v123
	v_add_f16_e64 v163, v8, v165
	v_add_f16_e32 v125, v8, v125
	v_add_f16_e64 v165, v8, v167
	v_add_f16_e32 v8, v8, v31
	v_add_f16_e64 v14, v13, v160
	v_add_f16_e32 v31, v13, v104
	v_add_f16_e64 v104, v13, v162
	v_add_f16_e32 v108, v13, v122
	v_add_f16_e64 v122, v13, v164
	v_add_f16_e32 v124, v13, v124
	v_add_f16_e64 v160, v13, v166
	v_add_f16_e32 v126, v13, v126
	v_add_f16_e64 v162, v13, v168
	v_add_f16_e32 v9, v13, v9
	v_add_f16_e32 v10, v10, v21
	v_add_f16_e32 v11, v11, v112
	;; [unrolled: 1-line block ×5, first 2 shown]
	v_add_f16_e64 v28, v128, v31
	v_add_f16_e64 v29, v169, v159
	;; [unrolled: 1-line block ×15, first 2 shown]
	v_add_f16_e32 v8, v99, v8
	v_add_f16_e32 v9, v97, v9
	;; [unrolled: 1-line block ×7, first 2 shown]
	v_add_f16_e64 v27, v176, v29
	v_add_f16_e32 v28, v106, v30
	v_add_f16_e64 v29, v136, v31
	v_add_f16_e64 v30, v139, v104
	;; [unrolled: 1-line block ×12, first 2 shown]
	v_add_f16_e32 v8, v100, v8
	v_add_f16_e32 v9, v102, v9
	v_add_f16_e64 v15, v135, v15
	v_add_f16_e32 v10, v10, v23
	v_add_f16_e32 v11, v11, v116
	;; [unrolled: 1-line block ×4, first 2 shown]
	v_add_f16_e64 v22, v182, v27
	v_add_f16_e64 v27, v186, v28
	v_add_f16_e64 v28, v144, v29
	v_add_f16_e64 v29, v148, v30
	v_add_f16_e64 v30, v183, v31
	v_add_f16_e64 v31, v187, v97
	v_add_f16_e64 v97, v145, v98
	v_add_f16_e64 v98, v149, v99
	v_add_f16_e64 v99, v184, v101
	v_add_f16_e64 v100, v188, v104
	v_add_f16_e64 v101, v146, v106
	v_add_f16_e64 v102, v150, v108
	v_add_f16_e64 v103, v185, v110
	v_add_f16_e64 v32, v189, v32
	v_add_f16_e32 v8, v105, v8
	v_add_f16_e32 v9, v109, v9
	v_add_f16_e64 v15, v143, v15
	v_add_f16_e64 v21, v147, v21
	v_add_f16_e32 v10, v10, v24
	v_add_f16_e32 v11, v11, v118
	;; [unrolled: 1-line block ×4, first 2 shown]
	v_add_f16_e64 v22, v190, v22
	v_add_f16_e64 v23, v194, v27
	;; [unrolled: 1-line block ×14, first 2 shown]
	v_add_f16_e32 v8, v113, v8
	v_add_f16_e32 v9, v117, v9
	v_add_f16_e64 v15, v151, v15
	v_add_f16_e64 v21, v155, v21
	v_add_f16_e32 v10, v10, v12
	v_add_f16_e32 v11, v11, v120
	v_pack_b32_f16 v13, v13, v14
	v_pack_b32_f16 v14, v22, v23
	;; [unrolled: 1-line block ×11, first 2 shown]
	ds_store_2addr_b32 v80, v14, v22 offset0:16 offset1:24
	ds_store_2addr_b32 v80, v23, v24 offset0:32 offset1:40
	;; [unrolled: 1-line block ×4, first 2 shown]
	ds_store_b32 v80, v15 offset:320
	ds_store_2addr_b32 v80, v10, v13 offset1:8
	global_wb scope:SCOPE_SE
	s_wait_dscnt 0x0
	s_barrier_signal -1
	s_barrier_wait -1
	global_inv scope:SCOPE_SE
	s_clause 0x2
	global_load_b128 v[12:15], v[25:26], off offset:344
	global_load_b128 v[8:11], v[25:26], off offset:360
	global_load_b64 v[21:22], v[25:26], off offset:376
	ds_load_2addr_b32 v[23:24], v33 offset1:88
	ds_load_2addr_b32 v[31:32], v83 offset0:48 offset1:136
	ds_load_2addr_b32 v[29:30], v84 offset0:96 offset1:184
	;; [unrolled: 1-line block ×4, first 2 shown]
	ds_load_b32 v107, v33 offset:3520
	s_wait_dscnt 0x5
	v_lshrrev_b32_e32 v109, 16, v24
	s_wait_dscnt 0x4
	v_lshrrev_b32_e32 v110, 16, v31
	v_lshrrev_b32_e32 v108, 16, v23
	v_lshrrev_b32_e32 v111, 16, v32
	s_wait_dscnt 0x1
	v_lshrrev_b32_e32 v117, 16, v26
	v_lshrrev_b32_e32 v115, 16, v28
	;; [unrolled: 4-line block ×3, first 2 shown]
	v_lshrrev_b32_e32 v113, 16, v30
	v_lshrrev_b32_e32 v114, 16, v27
	s_wait_loadcnt 0x2
	v_lshrrev_b32_e32 v106, 16, v12
	v_lshrrev_b32_e32 v105, 16, v13
	;; [unrolled: 1-line block ×3, first 2 shown]
	s_wait_loadcnt 0x1
	v_lshrrev_b32_e32 v100, 16, v10
	s_wait_loadcnt 0x0
	v_lshrrev_b32_e32 v97, 16, v21
	v_mul_f16_e32 v119, v109, v106
	v_mul_f16_e32 v120, v24, v106
	v_lshrrev_b32_e32 v101, 16, v9
	v_lshrrev_b32_e32 v99, 16, v11
	;; [unrolled: 1-line block ×3, first 2 shown]
	v_mul_f16_e32 v121, v110, v105
	v_mul_f16_e32 v122, v31, v105
	;; [unrolled: 1-line block ×3, first 2 shown]
	v_mul_f16_e64 v132, v28, v100
	v_mul_f16_e64 v135, v117, v97
	v_fmac_f16_e32 v120, v109, v12
	v_fma_f16 v24, v24, v12, -v119
	v_lshrrev_b32_e32 v103, 16, v15
	v_lshrrev_b32_e32 v102, 16, v8
	v_mul_f16_e32 v123, v111, v104
	v_mul_f16_e64 v130, v27, v101
	v_mul_f16_e64 v131, v115, v100
	v_mul_f16_e64 v133, v116, v99
	v_mul_f16_e64 v134, v25, v99
	v_mul_f16_e64 v136, v26, v97
	v_mul_f16_e64 v137, v118, v98
	v_mul_f16_e64 v138, v107, v98
	v_fma_f16 v31, v31, v13, -v121
	v_fmac_f16_e32 v122, v110, v13
	v_fmac_f16_e32 v124, v111, v14
	v_fmac_f16_e64 v132, v115, v10
	v_fma_f16 v26, v26, v21, -v135
	v_add_f16_e32 v111, v23, v24
	v_add_f16_e32 v115, v108, v120
	v_mul_f16_e32 v125, v112, v103
	v_mul_f16_e32 v126, v29, v103
	;; [unrolled: 1-line block ×3, first 2 shown]
	v_mul_f16_e64 v128, v30, v102
	v_mul_f16_e64 v129, v114, v101
	v_fma_f16 v32, v32, v14, -v123
	v_fmac_f16_e64 v130, v114, v9
	v_fma_f16 v25, v25, v11, -v133
	v_fmac_f16_e64 v138, v118, v22
	;; [unrolled: 2-line block ×3, first 2 shown]
	v_add_f16_e32 v114, v31, v26
	v_sub_f16_e32 v116, v31, v26
	v_add_f16_e32 v31, v111, v31
	v_add_f16_e32 v111, v115, v122
	v_fma_f16 v29, v29, v15, -v125
	v_fmac_f16_e32 v126, v112, v15
	v_fma_f16 v30, v30, v8, -v127
	v_fmac_f16_e64 v128, v113, v8
	v_fma_f16 v27, v27, v9, -v129
	v_fma_f16 v28, v28, v10, -v131
	v_fmac_f16_e64 v136, v117, v21
	v_sub_f16_e64 v107, v120, v138
	v_sub_f16_e32 v110, v24, v109
	v_add_f16_e64 v112, v120, v138
	v_add_f16_e32 v119, v32, v25
	v_sub_f16_e32 v120, v32, v25
	v_add_f16_e32 v31, v31, v32
	v_add_f16_e32 v32, v111, v124
	;; [unrolled: 1-line block ×3, first 2 shown]
	v_sub_f16_e64 v113, v122, v136
	v_sub_f16_e64 v118, v124, v134
	;; [unrolled: 1-line block ×3, first 2 shown]
	v_add_f16_e32 v125, v29, v28
	v_sub_f16_e32 v127, v29, v28
	v_sub_f16_e64 v131, v128, v130
	v_sub_f16_e64 v135, v30, v27
	v_mul_f16_e64 v139, 0xb853, v107
	v_mul_f16_e64 v140, 0xb853, v110
	v_add_f16_e32 v29, v31, v29
	v_add_f16_e32 v31, v32, v126
	v_mul_f16_e64 v141, 0xbb47, v107
	v_mul_f16_e64 v142, 0xbb47, v110
	;; [unrolled: 1-line block ×5, first 2 shown]
	v_mul_f16_e32 v107, 0xb482, v107
	v_mul_f16_e64 v146, 0xba0c, v110
	v_mul_f16_e32 v110, 0xb482, v110
	v_add_f16_e64 v117, v122, v136
	v_add_f16_e64 v121, v124, v134
	;; [unrolled: 1-line block ×5, first 2 shown]
	v_mul_f16_e64 v147, 0xbb47, v113
	v_mul_f16_e64 v148, 0xba0c, v113
	;; [unrolled: 1-line block ×4, first 2 shown]
	v_mul_f16_e32 v113, 0x3853, v113
	v_mul_f16_e32 v115, 0xbb47, v116
	;; [unrolled: 1-line block ×3, first 2 shown]
	v_mul_f16_e64 v151, 0x3482, v116
	v_mul_f16_e64 v152, 0x3beb, v116
	v_mul_f16_e32 v116, 0x3853, v116
	v_mul_f16_e64 v153, 0xbbeb, v118
	v_mul_f16_e64 v154, 0x3482, v118
	v_mul_f16_e64 v155, 0x3b47, v118
	v_mul_f16_e64 v156, 0xb853, v118
	v_mul_f16_e32 v118, 0xba0c, v118
	v_mul_f16_e64 v157, 0xbbeb, v120
	v_mul_f16_e64 v158, 0x3482, v120
	;; [unrolled: 5-line block ×5, first 2 shown]
	v_mul_f16_e64 v171, 0xba0c, v131
	v_mul_f16_e64 v172, 0x3b47, v131
	;; [unrolled: 1-line block ×8, first 2 shown]
	v_fma_f16 v177, v24, 0x3abb, -v139
	v_fma_f16 v178, 0x3abb, v112, v140
	v_add_f16_e32 v29, v29, v30
	v_add_f16_e64 v30, v31, v128
	v_fmac_f16_e64 v139, 0x3abb, v24
	v_fma_f16 v140, v112, 0x3abb, -v140
	v_fma_f16 v179, v24, 0x36a6, -v141
	v_fmac_f16_e64 v141, 0x36a6, v24
	v_fma_f16 v180, v24, 0xb08e, -v143
	v_fmac_f16_e64 v143, 0xb08e, v24
	;; [unrolled: 2-line block ×3, first 2 shown]
	v_fma_f16 v182, v24, 0xbbad, -v107
	v_fmac_f16_e32 v107, 0xbbad, v24
	v_fma_f16 v24, 0x36a6, v112, v142
	v_fma_f16 v142, v112, 0x36a6, -v142
	v_fma_f16 v183, 0xb08e, v112, v144
	v_fma_f16 v144, v112, 0xb08e, -v144
	v_fma_f16 v184, 0xb93d, v112, v146
	v_fma_f16 v185, 0xbbad, v112, v110
	v_fma_f16 v146, v112, 0xb93d, -v146
	v_fma_f16 v110, v112, 0xbbad, -v110
	v_fma_f16 v112, v114, 0x36a6, -v147
	v_fmac_f16_e64 v147, 0x36a6, v114
	v_fma_f16 v186, v114, 0xb93d, -v148
	v_fmac_f16_e64 v148, 0xb93d, v114
	v_fma_f16 v187, v114, 0xbbad, -v149
	;; [unrolled: 2-line block ×4, first 2 shown]
	v_fmac_f16_e32 v113, 0x3abb, v114
	v_fmamk_f16 v114, v117, 0x36a6, v115
	v_fma_f16 v115, v117, 0x36a6, -v115
	v_fma_f16 v190, 0xb93d, v117, v122
	v_fma_f16 v122, v117, 0xb93d, -v122
	v_fma_f16 v191, 0xbbad, v117, v151
	;; [unrolled: 2-line block ×4, first 2 shown]
	v_fma_f16 v116, v117, 0x3abb, -v116
	v_fma_f16 v117, v119, 0xb08e, -v153
	v_fmac_f16_e64 v153, 0xb08e, v119
	v_fma_f16 v194, v119, 0xbbad, -v154
	v_fmac_f16_e64 v154, 0xbbad, v119
	;; [unrolled: 2-line block ×4, first 2 shown]
	v_fma_f16 v197, v119, 0xb93d, -v118
	v_fmac_f16_e32 v118, 0xb93d, v119
	v_fma_f16 v111, 0xb08e, v121, v157
	v_fma_f16 v119, v121, 0xb08e, -v157
	v_fma_f16 v124, 0xbbad, v121, v158
	v_fma_f16 v157, v121, 0xbbad, -v158
	;; [unrolled: 2-line block ×5, first 2 shown]
	v_fma_f16 v121, v125, 0xb93d, -v161
	v_fmac_f16_e64 v161, 0xb93d, v125
	v_fma_f16 v200, v125, 0xb08e, -v162
	v_fmac_f16_e64 v162, 0xb08e, v125
	v_fma_f16 v201, v125, 0x3abb, -v163
	v_fmac_f16_e64 v163, 0x3abb, v125
	v_fma_f16 v202, v125, 0xbbad, -v164
	v_fmac_f16_e64 v164, 0xbbad, v125
	v_fma_f16 v203, v125, 0x36a6, -v123
	v_fmac_f16_e32 v123, 0x36a6, v125
	v_fma_f16 v125, 0xb93d, v129, v165
	v_fma_f16 v165, v129, 0xb93d, -v165
	v_fma_f16 v204, 0xb08e, v129, v166
	v_fma_f16 v166, v129, 0xb08e, -v166
	;; [unrolled: 2-line block ×5, first 2 shown]
	v_fma_f16 v129, v133, 0xbbad, -v169
	v_fmac_f16_e64 v169, 0xbbad, v133
	v_fma_f16 v208, v133, 0x3abb, -v170
	v_fmac_f16_e64 v170, 0x3abb, v133
	;; [unrolled: 2-line block ×5, first 2 shown]
	v_fma_f16 v133, 0xbbad, v137, v173
	v_fma_f16 v173, v137, 0xbbad, -v173
	v_fma_f16 v212, 0x3abb, v137, v174
	v_fma_f16 v174, v137, 0x3abb, -v174
	;; [unrolled: 2-line block ×5, first 2 shown]
	v_add_f16_e64 v137, v23, v177
	v_add_f16_e64 v32, v108, v178
	v_add_f16_e32 v27, v29, v27
	v_add_f16_e64 v29, v30, v130
	v_add_f16_e64 v139, v23, v139
	;; [unrolled: 1-line block ×9, first 2 shown]
	v_add_f16_e32 v23, v23, v107
	v_add_f16_e64 v107, v108, v140
	v_add_f16_e32 v24, v108, v24
	v_add_f16_e64 v126, v108, v142
	v_add_f16_e64 v140, v108, v183
	;; [unrolled: 1-line block ×6, first 2 shown]
	v_add_f16_e32 v108, v108, v110
	v_add_f16_e64 v31, v112, v137
	v_add_f16_e32 v32, v114, v32
	v_add_f16_e32 v27, v27, v28
	v_add_f16_e64 v28, v29, v132
	v_add_f16_e64 v110, v147, v139
	v_add_f16_e32 v107, v115, v107
	v_add_f16_e64 v112, v186, v177
	v_add_f16_e64 v24, v190, v24
	;; [unrolled: 1-line block ×3, first 2 shown]
	v_add_f16_e32 v115, v122, v126
	v_add_f16_e64 v122, v187, v179
	v_add_f16_e64 v126, v191, v140
	;; [unrolled: 1-line block ×10, first 2 shown]
	v_add_f16_e32 v23, v113, v23
	v_add_f16_e32 v108, v116, v108
	;; [unrolled: 1-line block ×5, first 2 shown]
	v_add_f16_e64 v27, v28, v134
	v_add_f16_e64 v32, v153, v110
	;; [unrolled: 1-line block ×3, first 2 shown]
	v_add_f16_e32 v24, v124, v24
	v_add_f16_e64 v111, v154, v114
	v_add_f16_e64 v113, v195, v122
	;; [unrolled: 1-line block ×3, first 2 shown]
	v_add_f16_e32 v107, v119, v107
	v_add_f16_e64 v112, v157, v115
	v_add_f16_e64 v115, v155, v128
	;; [unrolled: 1-line block ×9, first 2 shown]
	v_add_f16_e32 v23, v118, v23
	v_add_f16_e32 v108, v120, v108
	v_add_f16_e32 v29, v121, v30
	v_add_f16_e32 v30, v125, v31
	v_add_f16_e32 v25, v25, v26
	v_add_f16_e64 v26, v27, v136
	v_add_f16_e64 v31, v161, v32
	;; [unrolled: 1-line block ×17, first 2 shown]
	v_add_f16_e32 v23, v123, v23
	v_add_f16_e32 v123, v127, v108
	v_add_f16_e64 v28, v129, v29
	v_add_f16_e64 v29, v133, v30
	v_add_f16_e32 v25, v25, v109
	v_add_f16_e64 v26, v26, v138
	v_add_f16_e64 v107, v169, v31
	v_add_f16_e64 v30, v208, v110
	v_add_f16_e64 v24, v212, v24
	v_add_f16_e64 v31, v170, v111
	v_add_f16_e64 v110, v209, v113
	v_add_f16_e64 v111, v213, v114
	v_add_f16_e64 v108, v173, v32
	v_add_f16_e64 v32, v174, v112
	v_add_f16_e64 v112, v171, v115
	v_add_f16_e64 v113, v175, v116
	v_add_f16_e64 v114, v210, v117
	v_add_f16_e64 v115, v214, v118
	v_add_f16_e64 v116, v172, v119
	v_add_f16_e64 v118, v211, v121
	v_add_f16_e64 v119, v215, v122
	v_add_f16_e64 v117, v176, v120
	v_add_f16_e64 v23, v131, v23
	v_add_f16_e64 v27, v135, v123
	v_pack_b32_f16 v28, v28, v29
	v_pack_b32_f16 v25, v25, v26
	;; [unrolled: 1-line block ×11, first 2 shown]
	ds_store_2addr_b32 v33, v25, v28 offset1:88
	ds_store_2addr_b32 v83, v24, v29 offset0:48 offset1:136
	ds_store_2addr_b32 v84, v30, v109 offset0:96 offset1:184
	;; [unrolled: 1-line block ×4, first 2 shown]
	ds_store_b32 v33, v32 offset:3520
	global_wb scope:SCOPE_SE
	s_wait_dscnt 0x0
	s_barrier_signal -1
	s_barrier_wait -1
	global_inv scope:SCOPE_SE
	s_clause 0x9
	global_load_b32 v109, v[16:17], off offset:3872
	global_load_b32 v110, v56, s[0:1] offset:1936
	global_load_b32 v111, v56, s[0:1] offset:352
	;; [unrolled: 1-line block ×9, first 2 shown]
	ds_load_2addr_b32 v[23:24], v33 offset1:88
	ds_load_2addr_b32 v[25:26], v84 offset0:96 offset1:228
	ds_load_2addr_b32 v[27:28], v85 offset0:60 offset1:148
	;; [unrolled: 1-line block ×4, first 2 shown]
	s_wait_dscnt 0x4
	v_lshrrev_b32_e32 v119, 16, v23
	v_lshrrev_b32_e32 v121, 16, v24
	s_wait_dscnt 0x2
	v_lshrrev_b32_e32 v122, 16, v27
	v_lshrrev_b32_e32 v124, 16, v28
	;; [unrolled: 3-line block ×3, first 2 shown]
	v_lshrrev_b32_e32 v120, 16, v26
	v_lshrrev_b32_e32 v127, 16, v25
	s_wait_dscnt 0x0
	v_lshrrev_b32_e32 v126, 16, v31
	v_lshrrev_b32_e32 v128, 16, v32
	s_wait_loadcnt 0x9
	v_lshrrev_b32_e32 v129, 16, v109
	s_wait_loadcnt 0x8
	;; [unrolled: 2-line block ×10, first 2 shown]
	v_lshrrev_b32_e32 v138, 16, v118
	v_mul_f16_e64 v139, v23, v129
	v_mul_f16_e64 v129, v119, v129
	v_mul_f16_e64 v140, v121, v131
	v_mul_f16_e64 v131, v24, v131
	v_mul_f16_e64 v142, v122, v132
	v_mul_f16_e64 v132, v27, v132
	v_mul_f16_e64 v144, v124, v134
	v_mul_f16_e64 v134, v28, v134
	v_mul_f16_e64 v143, v123, v133
	v_mul_f16_e64 v133, v29, v133
	v_mul_f16_e64 v145, v125, v135
	v_mul_f16_e64 v135, v30, v135
	v_mul_f16_e64 v141, v120, v130
	v_mul_f16_e64 v130, v26, v130
	v_mul_f16_e64 v147, v127, v137
	v_mul_f16_e64 v137, v25, v137
	v_mul_f16_e64 v146, v126, v136
	v_mul_f16_e64 v136, v31, v136
	v_mul_f16_e64 v148, v128, v138
	v_mul_f16_e64 v138, v32, v138
	v_fmac_f16_e64 v139, v119, v109
	v_fma_f16 v23, v23, v109, -v129
	v_fma_f16 v24, v24, v111, -v140
	v_fmac_f16_e64 v131, v121, v111
	v_fmac_f16_e64 v132, v122, v112
	v_fma_f16 v27, v27, v112, -v142
	v_fma_f16 v28, v28, v114, -v144
	v_fmac_f16_e64 v134, v124, v114
	;; [unrolled: 4-line block ×4, first 2 shown]
	v_fma_f16 v31, v31, v116, -v146
	v_fmac_f16_e64 v136, v126, v116
	v_fma_f16 v32, v32, v118, -v148
	v_fmac_f16_e64 v138, v128, v118
	v_pack_b32_f16 v23, v23, v139
	v_pack_b32_f16 v24, v24, v131
	v_pack_b32_f16 v27, v27, v132
	v_pack_b32_f16 v28, v28, v134
	v_pack_b32_f16 v29, v29, v133
	v_pack_b32_f16 v30, v30, v135
	v_pack_b32_f16 v26, v26, v130
	v_pack_b32_f16 v25, v25, v137
	v_pack_b32_f16 v31, v31, v136
	v_pack_b32_f16 v32, v32, v138
	ds_store_2addr_b32 v33, v23, v24 offset1:88
	ds_store_2addr_b32 v85, v27, v28 offset0:60 offset1:148
	ds_store_2addr_b32 v83, v29, v30 offset0:48 offset1:136
	;; [unrolled: 1-line block ×4, first 2 shown]
	s_and_saveexec_b32 s2, vcc_lo
	s_cbranch_execz .LBB0_17
; %bb.16:
	s_wait_alu 0xfffe
	v_add_co_u32 v23, s0, s0, v56
	s_wait_alu 0xf1ff
	v_add_co_ci_u32_e64 v24, null, s1, 0, s0
	s_clause 0x1
	global_load_b32 v25, v[23:24], off offset:1760
	global_load_b32 v23, v[23:24], off offset:3696
	ds_load_b32 v24, v33 offset:1760
	ds_load_b32 v26, v33 offset:3696
	s_wait_dscnt 0x1
	v_lshrrev_b32_e32 v27, 16, v24
	s_wait_dscnt 0x0
	v_lshrrev_b32_e32 v29, 16, v26
	s_wait_loadcnt 0x1
	v_lshrrev_b32_e32 v28, 16, v25
	s_wait_loadcnt 0x0
	v_lshrrev_b32_e32 v30, 16, v23
	s_delay_alu instid0(VALU_DEP_2) | instskip(SKIP_1) | instid1(VALU_DEP_3)
	v_mul_f16_e32 v31, v27, v28
	v_mul_f16_e32 v28, v24, v28
	;; [unrolled: 1-line block ×4, first 2 shown]
	s_delay_alu instid0(VALU_DEP_4) | instskip(NEXT) | instid1(VALU_DEP_4)
	v_fma_f16 v24, v24, v25, -v31
	v_fmac_f16_e32 v28, v27, v25
	s_delay_alu instid0(VALU_DEP_4) | instskip(NEXT) | instid1(VALU_DEP_4)
	v_fma_f16 v25, v26, v23, -v32
	v_fmac_f16_e32 v30, v29, v23
	s_delay_alu instid0(VALU_DEP_3) | instskip(NEXT) | instid1(VALU_DEP_2)
	v_pack_b32_f16 v23, v24, v28
	v_pack_b32_f16 v24, v25, v30
	ds_store_b32 v33, v23 offset:1760
	ds_store_b32 v33, v24 offset:3696
.LBB0_17:
	s_wait_alu 0xfffe
	s_or_b32 exec_lo, exec_lo, s2
	global_wb scope:SCOPE_SE
	s_wait_dscnt 0x0
	s_barrier_signal -1
	s_barrier_wait -1
	global_inv scope:SCOPE_SE
	ds_load_2addr_b32 v[27:28], v33 offset1:88
	ds_load_2addr_b32 v[23:24], v84 offset0:96 offset1:228
	ds_load_2addr_b32 v[29:30], v85 offset0:60 offset1:148
	;; [unrolled: 1-line block ×4, first 2 shown]
	s_and_saveexec_b32 s0, vcc_lo
	s_cbranch_execz .LBB0_19
; %bb.18:
	ds_load_b32 v107, v33 offset:1760
	ds_load_b32 v81, v33 offset:3696
	s_wait_dscnt 0x1
	v_lshrrev_b32_e32 v108, 16, v107
	s_wait_dscnt 0x0
	v_lshrrev_b32_e32 v82, 16, v81
.LBB0_19:
	s_wait_alu 0xfffe
	s_or_b32 exec_lo, exec_lo, s0
	s_wait_dscnt 0x3
	v_pk_add_f16 v85, v27, v24 neg_lo:[0,1] neg_hi:[0,1]
	v_sub_f16_e32 v83, v107, v81
	v_sub_f16_e32 v82, v108, v82
	s_wait_dscnt 0x2
	v_pk_add_f16 v29, v28, v29 neg_lo:[0,1] neg_hi:[0,1]
	s_wait_dscnt 0x1
	v_pk_add_f16 v109, v25, v30 neg_lo:[0,1] neg_hi:[0,1]
	;; [unrolled: 2-line block ×3, first 2 shown]
	v_pk_add_f16 v24, v23, v32 neg_lo:[0,1] neg_hi:[0,1]
	v_fma_f16 v56, v107, 2.0, -v83
	v_fma_f16 v81, v108, 2.0, -v82
	v_pk_fma_f16 v84, v27, 2.0, v85 op_sel_hi:[1,0,1] neg_lo:[0,0,1] neg_hi:[0,0,1]
	v_pk_fma_f16 v28, v28, 2.0, v29 op_sel_hi:[1,0,1] neg_lo:[0,0,1] neg_hi:[0,0,1]
	;; [unrolled: 1-line block ×5, first 2 shown]
	global_wb scope:SCOPE_SE
	s_barrier_signal -1
	s_barrier_wait -1
	global_inv scope:SCOPE_SE
	ds_store_b64 v61, v[84:85]
	ds_store_b64 v63, v[28:29]
	;; [unrolled: 1-line block ×5, first 2 shown]
	s_and_saveexec_b32 s0, vcc_lo
	s_cbranch_execz .LBB0_21
; %bb.20:
	v_perm_b32 v24, v82, v83, 0x5040100
	v_perm_b32 v23, v81, v56, 0x5040100
	ds_store_b64 v64, v[23:24]
.LBB0_21:
	s_wait_alu 0xfffe
	s_or_b32 exec_lo, exec_lo, s0
	v_add_nc_u32_e32 v23, 0x400, v33
	v_add_nc_u32_e32 v25, 0x800, v33
	;; [unrolled: 1-line block ×4, first 2 shown]
	global_wb scope:SCOPE_SE
	s_wait_dscnt 0x0
	s_barrier_signal -1
	s_barrier_wait -1
	global_inv scope:SCOPE_SE
	ds_load_2addr_b32 v[27:28], v33 offset1:88
	ds_load_2addr_b32 v[23:24], v23 offset0:96 offset1:228
	ds_load_2addr_b32 v[31:32], v25 offset0:60 offset1:148
	;; [unrolled: 1-line block ×4, first 2 shown]
	s_and_saveexec_b32 s0, vcc_lo
	s_cbranch_execz .LBB0_23
; %bb.22:
	ds_load_b32 v56, v33 offset:1760
	ds_load_b32 v83, v33 offset:3696
	s_wait_dscnt 0x1
	v_lshrrev_b32_e32 v81, 16, v56
	s_wait_dscnt 0x0
	v_lshrrev_b32_e32 v82, 16, v83
.LBB0_23:
	s_wait_alu 0xfffe
	s_or_b32 exec_lo, exec_lo, s0
	s_wait_dscnt 0x2
	v_lshrrev_b32_e32 v65, 16, v31
	v_lshrrev_b32_e32 v63, 16, v24
	v_lshrrev_b32_e32 v67, 16, v32
	v_mul_f16_e32 v108, v73, v24
	v_mul_f16_e32 v111, v73, v31
	;; [unrolled: 1-line block ×4, first 2 shown]
	s_wait_dscnt 0x0
	v_lshrrev_b32_e32 v110, 16, v30
	v_lshrrev_b32_e32 v85, 16, v29
	v_lshrrev_b32_e32 v61, 16, v27
	v_fmac_f16_e32 v109, v59, v31
	v_mul_f16_e32 v31, v73, v67
	v_fmac_f16_e32 v107, v59, v24
	v_fma_f16 v24, v59, v63, -v108
	v_fma_f16 v63, v59, v65, -v111
	v_mul_f16_e32 v65, v73, v32
	v_fmac_f16_e32 v31, v59, v32
	v_mul_f16_e32 v32, v73, v110
	v_mul_f16_e32 v108, v73, v85
	;; [unrolled: 1-line block ×3, first 2 shown]
	v_fma_f16 v65, v59, v67, -v65
	v_mul_f16_e32 v67, v73, v30
	v_fmac_f16_e32 v32, v59, v30
	v_mul_f16_e32 v30, v73, v82
	v_mul_f16_e32 v73, v73, v83
	v_lshrrev_b32_e32 v64, 16, v28
	v_lshrrev_b32_e32 v66, 16, v25
	;; [unrolled: 1-line block ×3, first 2 shown]
	v_fmac_f16_e32 v108, v59, v29
	v_fma_f16 v29, v59, v85, -v111
	v_lshrrev_b32_e32 v86, 16, v23
	v_fma_f16 v67, v59, v110, -v67
	v_sub_f16_e32 v85, v27, v107
	v_sub_f16_e32 v24, v61, v24
	v_fmac_f16_e32 v30, v59, v83
	v_fma_f16 v73, v59, v82, -v73
	v_sub_f16_e32 v82, v28, v109
	v_sub_f16_e32 v107, v64, v63
	;; [unrolled: 1-line block ×8, first 2 shown]
	v_fma_f16 v27, v27, 2.0, -v85
	v_fma_f16 v83, v61, 2.0, -v24
	v_sub_f16_e32 v59, v56, v30
	v_sub_f16_e32 v63, v81, v73
	v_fma_f16 v28, v28, 2.0, -v82
	v_fma_f16 v64, v64, 2.0, -v107
	;; [unrolled: 1-line block ×10, first 2 shown]
	v_pack_b32_f16 v27, v27, v83
	v_pack_b32_f16 v24, v85, v24
	;; [unrolled: 1-line block ×10, first 2 shown]
	global_wb scope:SCOPE_SE
	s_barrier_signal -1
	s_barrier_wait -1
	global_inv scope:SCOPE_SE
	ds_store_2addr_b32 v68, v27, v24 offset1:2
	ds_store_2addr_b32 v69, v28, v64 offset1:2
	;; [unrolled: 1-line block ×5, first 2 shown]
	s_and_saveexec_b32 s0, vcc_lo
	s_cbranch_execz .LBB0_25
; %bb.24:
	v_and_or_b32 v23, 0x3fc, v57, v58
	v_perm_b32 v24, v61, v56, 0x5040100
	v_perm_b32 v25, v63, v59, 0x5040100
	s_delay_alu instid0(VALU_DEP_3)
	v_lshl_add_u32 v23, v23, 2, v55
	ds_store_2addr_b32 v23, v24, v25 offset1:2
.LBB0_25:
	s_wait_alu 0xfffe
	s_or_b32 exec_lo, exec_lo, s0
	v_add_nc_u32_e32 v23, 0x400, v33
	v_add_nc_u32_e32 v25, 0x800, v33
	;; [unrolled: 1-line block ×4, first 2 shown]
	global_wb scope:SCOPE_SE
	s_wait_dscnt 0x0
	s_barrier_signal -1
	s_barrier_wait -1
	global_inv scope:SCOPE_SE
	ds_load_2addr_b32 v[27:28], v33 offset1:88
	ds_load_2addr_b32 v[23:24], v23 offset0:96 offset1:228
	ds_load_2addr_b32 v[31:32], v25 offset0:60 offset1:148
	;; [unrolled: 1-line block ×4, first 2 shown]
	s_and_saveexec_b32 s0, vcc_lo
	s_cbranch_execz .LBB0_27
; %bb.26:
	ds_load_b32 v56, v33 offset:1760
	ds_load_b32 v59, v33 offset:3696
	s_wait_dscnt 0x1
	v_lshrrev_b32_e32 v61, 16, v56
	s_wait_dscnt 0x0
	v_lshrrev_b32_e32 v63, 16, v59
.LBB0_27:
	s_wait_alu 0xfffe
	s_or_b32 exec_lo, exec_lo, s0
	s_wait_dscnt 0x3
	v_lshrrev_b32_e32 v64, 16, v24
	s_wait_dscnt 0x2
	v_lshrrev_b32_e32 v66, 16, v31
	v_lshrrev_b32_e32 v68, 16, v32
	v_mul_f16_e32 v83, v74, v31
	s_wait_dscnt 0x0
	v_lshrrev_b32_e32 v70, 16, v29
	v_mul_f16_e32 v72, v74, v64
	v_mul_f16_e32 v82, v74, v66
	;; [unrolled: 1-line block ×3, first 2 shown]
	v_lshrrev_b32_e32 v73, 16, v30
	v_lshrrev_b32_e32 v58, 16, v27
	v_fmac_f16_e32 v72, v62, v24
	v_mul_f16_e32 v24, v74, v68
	v_fmac_f16_e32 v82, v62, v31
	v_fma_f16 v31, v62, v66, -v83
	v_mul_f16_e32 v66, v74, v32
	v_fma_f16 v64, v62, v64, -v81
	v_fmac_f16_e32 v24, v62, v32
	v_mul_f16_e32 v32, v74, v70
	v_mul_f16_e32 v81, v74, v29
	;; [unrolled: 1-line block ×3, first 2 shown]
	v_fma_f16 v66, v62, v68, -v66
	v_mul_f16_e32 v68, v74, v30
	v_lshrrev_b32_e32 v65, 16, v28
	v_lshrrev_b32_e32 v67, 16, v25
	;; [unrolled: 1-line block ×3, first 2 shown]
	v_fmac_f16_e32 v32, v62, v29
	v_fma_f16 v29, v62, v70, -v81
	v_lshrrev_b32_e32 v71, 16, v23
	v_fmac_f16_e32 v83, v62, v30
	v_fma_f16 v68, v62, v73, -v68
	v_sub_f16_e32 v30, v27, v72
	v_sub_f16_e32 v64, v58, v64
	;; [unrolled: 1-line block ×10, first 2 shown]
	v_fma_f16 v27, v27, 2.0, -v30
	v_fma_f16 v58, v58, 2.0, -v64
	;; [unrolled: 1-line block ×10, first 2 shown]
	v_pack_b32_f16 v27, v27, v58
	v_pack_b32_f16 v30, v30, v64
	;; [unrolled: 1-line block ×10, first 2 shown]
	global_wb scope:SCOPE_SE
	s_barrier_signal -1
	s_barrier_wait -1
	global_inv scope:SCOPE_SE
	ds_store_2addr_b32 v75, v27, v30 offset1:4
	ds_store_2addr_b32 v76, v28, v31 offset1:4
	;; [unrolled: 1-line block ×5, first 2 shown]
	s_and_saveexec_b32 s0, vcc_lo
	s_cbranch_execz .LBB0_29
; %bb.28:
	v_mul_f16_e32 v23, v74, v63
	v_mul_f16_e32 v24, v74, v59
	v_and_or_b32 v25, 0x3f8, v57, v60
	s_delay_alu instid0(VALU_DEP_3) | instskip(NEXT) | instid1(VALU_DEP_3)
	v_fmac_f16_e32 v23, v62, v59
	v_fma_f16 v24, v62, v63, -v24
	s_delay_alu instid0(VALU_DEP_3) | instskip(NEXT) | instid1(VALU_DEP_3)
	v_lshl_add_u32 v25, v25, 2, v55
	v_sub_f16_e32 v23, v56, v23
	s_delay_alu instid0(VALU_DEP_3) | instskip(NEXT) | instid1(VALU_DEP_2)
	v_sub_f16_e32 v24, v61, v24
	v_fma_f16 v26, v56, 2.0, -v23
	s_delay_alu instid0(VALU_DEP_2) | instskip(SKIP_1) | instid1(VALU_DEP_2)
	v_fma_f16 v27, v61, 2.0, -v24
	v_pack_b32_f16 v23, v23, v24
	v_pack_b32_f16 v26, v26, v27
	ds_store_2addr_b32 v25, v26, v23 offset1:4
.LBB0_29:
	s_wait_alu 0xfffe
	s_or_b32 exec_lo, exec_lo, s0
	v_add_nc_u32_e32 v24, 0x200, v33
	global_wb scope:SCOPE_SE
	s_wait_dscnt 0x0
	s_barrier_signal -1
	s_barrier_wait -1
	global_inv scope:SCOPE_SE
	ds_load_2addr_b32 v[27:28], v33 offset1:88
	ds_load_2addr_b32 v[29:30], v24 offset0:48 offset1:136
	v_add_nc_u32_e32 v26, 0x400, v33
	v_add_nc_u32_e32 v25, 0x800, v33
	;; [unrolled: 1-line block ×3, first 2 shown]
	ds_load_b32 v59, v33 offset:3520
	ds_load_2addr_b32 v[31:32], v26 offset0:96 offset1:184
	ds_load_2addr_b32 v[55:56], v25 offset0:16 offset1:104
	ds_load_2addr_b32 v[57:58], v23 offset0:64 offset1:152
	global_wb scope:SCOPE_SE
	s_wait_dscnt 0x0
	s_barrier_signal -1
	s_barrier_wait -1
	global_inv scope:SCOPE_SE
	s_mov_b32 s10, 0x6be69c90
	s_mov_b32 s11, 0x3f50ecf5
	v_lshrrev_b32_e32 v61, 16, v28
	v_mul_f16_e32 v63, v96, v28
	v_lshrrev_b32_e32 v64, 16, v29
	v_lshrrev_b32_e32 v60, 16, v27
	;; [unrolled: 1-line block ×5, first 2 shown]
	v_mul_f16_e32 v72, v96, v61
	v_fma_f16 v61, v4, v61, -v63
	v_mul_f16_e32 v63, v95, v29
	v_mul_f16_e32 v74, v95, v64
	v_lshrrev_b32_e32 v68, 16, v55
	v_fmac_f16_e32 v72, v4, v28
	v_mul_f16_e32 v73, v94, v30
	v_fma_f16 v28, v5, v64, -v63
	v_mul_f16_e32 v63, v93, v66
	v_fmac_f16_e32 v74, v5, v29
	v_mul_f16_e32 v5, v93, v31
	v_mul_f16_e32 v29, v92, v67
	;; [unrolled: 1-line block ×3, first 2 shown]
	v_fmac_f16_e32 v63, v7, v31
	v_add_f16_e32 v31, v27, v72
	v_fma_f16 v5, v7, v66, -v5
	v_mul_f16_e32 v7, v92, v32
	v_fmac_f16_e32 v29, v0, v32
	v_add_f16_e32 v32, v60, v61
	v_fmac_f16_e32 v4, v6, v30
	v_fma_f16 v6, v6, v65, -v73
	v_mul_f16_e32 v30, v91, v68
	v_fma_f16 v0, v0, v67, -v7
	v_mul_f16_e32 v7, v91, v55
	v_add_f16_e32 v31, v31, v74
	v_add_f16_e32 v32, v32, v28
	v_fmac_f16_e32 v30, v1, v55
	v_lshrrev_b32_e32 v69, 16, v56
	v_fma_f16 v1, v1, v68, -v7
	v_add_f16_e32 v7, v31, v4
	v_add_f16_e32 v31, v32, v6
	v_lshrrev_b32_e32 v70, 16, v57
	v_lshrrev_b32_e32 v71, 16, v58
	v_mul_f16_e32 v55, v90, v69
	v_mul_f16_e32 v64, v90, v56
	v_add_f16_e32 v31, v31, v5
	v_mul_f16_e32 v32, v89, v70
	v_add_f16_e32 v7, v7, v63
	v_fmac_f16_e32 v55, v2, v56
	v_fma_f16 v2, v2, v69, -v64
	v_add_f16_e32 v31, v31, v0
	v_mul_f16_e32 v56, v89, v57
	v_mul_f16_e32 v64, v87, v71
	v_lshrrev_b32_e32 v62, 16, v59
	v_fmac_f16_e32 v32, v3, v57
	v_add_f16_e32 v31, v31, v1
	v_add_f16_e32 v7, v7, v29
	v_fma_f16 v3, v3, v70, -v56
	v_fmac_f16_e32 v64, v19, v58
	v_mul_f16_e32 v56, v88, v59
	v_mul_f16_e32 v58, v87, v58
	v_add_f16_e32 v31, v31, v2
	v_add_f16_e32 v7, v7, v30
	v_mul_f16_e32 v57, v88, v62
	v_fma_f16 v56, v20, v62, -v56
	v_fma_f16 v19, v19, v71, -v58
	v_add_f16_e32 v31, v31, v3
	v_add_f16_e32 v7, v7, v55
	v_fmac_f16_e32 v57, v20, v59
	v_sub_f16_e32 v20, v61, v56
	v_add_f16_e32 v59, v61, v56
	v_add_f16_e32 v31, v31, v19
	;; [unrolled: 1-line block ×4, first 2 shown]
	v_mul_f16_e32 v61, 0xb853, v20
	v_sub_f16_e32 v62, v72, v57
	v_mul_f16_e32 v65, 0x3abb, v59
	v_add_f16_e32 v31, v31, v56
	v_mul_f16_e32 v56, 0xbb47, v20
	v_mul_f16_e32 v68, 0x36a6, v59
	;; [unrolled: 1-line block ×8, first 2 shown]
	v_sub_f16_e32 v81, v28, v19
	v_add_f16_e32 v7, v7, v64
	v_fmamk_f16 v66, v58, 0x3abb, v61
	v_fma_f16 v61, v58, 0x3abb, -v61
	v_fmamk_f16 v67, v58, 0x36a6, v56
	v_fma_f16 v56, v58, 0x36a6, -v56
	;; [unrolled: 2-line block ×4, first 2 shown]
	v_fmamk_f16 v79, v58, 0xbbad, v20
	v_fmamk_f16 v82, v62, 0x3482, v59
	v_fma_f16 v20, v58, 0xbbad, -v20
	v_add_f16_e32 v19, v28, v19
	v_add_f16_e32 v28, v74, v64
	v_mul_f16_e32 v58, 0xbb47, v81
	v_add_f16_e32 v7, v7, v57
	v_fmamk_f16 v57, v62, 0x3853, v65
	v_add_f16_e32 v66, v27, v66
	v_fmac_f16_e32 v65, 0xb853, v62
	v_fmamk_f16 v70, v62, 0x3b47, v68
	v_fmac_f16_e32 v68, 0xbb47, v62
	v_fmamk_f16 v73, v62, 0x3beb, v71
	;; [unrolled: 2-line block ×3, first 2 shown]
	v_fmac_f16_e32 v76, 0xba0c, v62
	v_fmac_f16_e32 v59, 0xb482, v62
	v_sub_f16_e32 v62, v74, v64
	v_mul_f16_e32 v64, 0x36a6, v19
	v_add_f16_e32 v74, v60, v82
	v_fmamk_f16 v82, v28, 0x36a6, v58
	v_add_f16_e32 v57, v60, v57
	v_add_f16_e32 v61, v27, v61
	;; [unrolled: 1-line block ×18, first 2 shown]
	v_fmamk_f16 v59, v62, 0x3b47, v64
	v_mul_f16_e32 v60, 0xba0c, v81
	v_add_f16_e32 v66, v82, v66
	v_fma_f16 v58, v28, 0x36a6, -v58
	v_fmac_f16_e32 v64, 0xbb47, v62
	v_mul_f16_e32 v82, 0xb93d, v19
	v_add_f16_e32 v57, v59, v57
	v_fmamk_f16 v59, v28, 0xb93d, v60
	v_add_f16_e32 v58, v58, v61
	v_add_f16_e32 v61, v64, v65
	v_mul_f16_e32 v64, 0x3482, v81
	v_fmamk_f16 v65, v62, 0x3a0c, v82
	v_fma_f16 v60, v28, 0xb93d, -v60
	v_fmac_f16_e32 v82, 0xba0c, v62
	v_mul_f16_e32 v83, 0xbbad, v19
	v_add_f16_e32 v59, v59, v67
	v_fmamk_f16 v67, v28, 0xbbad, v64
	v_add_f16_e32 v65, v65, v70
	v_add_f16_e32 v56, v60, v56
	v_add_f16_e32 v60, v82, v68
	v_fmamk_f16 v68, v62, 0xb482, v83
	v_mul_f16_e32 v70, 0x3beb, v81
	v_add_f16_e32 v67, v67, v72
	v_fma_f16 v64, v28, 0xbbad, -v64
	v_mul_f16_e32 v72, 0xb08e, v19
	v_add_f16_e32 v68, v68, v73
	v_fmamk_f16 v73, v28, 0xb08e, v70
	v_mul_f16_e32 v81, 0x3853, v81
	v_fma_f16 v70, v28, 0xb08e, -v70
	v_add_f16_e32 v64, v64, v69
	v_fmamk_f16 v69, v62, 0xbbeb, v72
	v_add_f16_e32 v73, v73, v77
	v_fmac_f16_e32 v72, 0x3beb, v62
	v_fmamk_f16 v77, v28, 0x3abb, v81
	v_add_f16_e32 v70, v70, v75
	v_sub_f16_e32 v75, v6, v3
	v_add_f16_e32 v69, v69, v78
	v_mul_f16_e32 v19, 0x3abb, v19
	v_add_f16_e32 v72, v72, v76
	v_add_f16_e32 v76, v77, v79
	;; [unrolled: 1-line block ×3, first 2 shown]
	v_mul_f16_e32 v79, 0xbbeb, v75
	v_add_f16_e32 v3, v6, v3
	v_fmamk_f16 v77, v62, 0xb853, v19
	v_fma_f16 v6, v28, 0x3abb, -v81
	v_fmac_f16_e32 v19, 0x3853, v62
	v_sub_f16_e32 v4, v4, v32
	v_fmamk_f16 v28, v78, 0xb08e, v79
	v_mul_f16_e32 v32, 0xb08e, v3
	v_fmac_f16_e32 v83, 0x3482, v62
	v_add_f16_e32 v62, v77, v74
	v_add_f16_e32 v6, v6, v20
	;; [unrolled: 1-line block ×4, first 2 shown]
	v_fmamk_f16 v27, v4, 0x3beb, v32
	v_mul_f16_e32 v28, 0x3482, v75
	v_fma_f16 v66, v78, 0xb08e, -v79
	v_fmac_f16_e32 v32, 0xbbeb, v4
	v_mul_f16_e32 v74, 0xbbad, v3
	v_add_f16_e32 v27, v27, v57
	v_fmamk_f16 v57, v78, 0xbbad, v28
	v_add_f16_e32 v58, v66, v58
	v_add_f16_e32 v32, v32, v61
	v_fmamk_f16 v61, v4, 0xb482, v74
	v_mul_f16_e32 v66, 0x3b47, v75
	v_add_f16_e32 v57, v57, v59
	v_fma_f16 v28, v78, 0xbbad, -v28
	v_fmac_f16_e32 v74, 0x3482, v4
	v_add_f16_e32 v59, v61, v65
	v_fmamk_f16 v61, v78, 0x36a6, v66
	v_mul_f16_e32 v65, 0x36a6, v3
	v_add_f16_e32 v28, v28, v56
	v_add_f16_e32 v56, v74, v60
	v_mul_f16_e32 v60, 0xb853, v75
	v_add_f16_e32 v61, v61, v67
	v_fmamk_f16 v67, v4, 0xbb47, v65
	v_mul_f16_e32 v77, 0x3abb, v3
	v_add_f16_e32 v71, v83, v71
	v_fma_f16 v66, v78, 0x36a6, -v66
	v_fmac_f16_e32 v65, 0x3b47, v4
	v_fmamk_f16 v74, v78, 0x3abb, v60
	v_add_f16_e32 v67, v67, v68
	v_fmamk_f16 v68, v4, 0x3853, v77
	v_mul_f16_e32 v3, 0xb93d, v3
	v_fma_f16 v60, v78, 0x3abb, -v60
	v_fmac_f16_e32 v77, 0xb853, v4
	v_add_f16_e32 v64, v66, v64
	v_add_f16_e32 v65, v65, v71
	;; [unrolled: 1-line block ×3, first 2 shown]
	v_mul_f16_e32 v71, 0xba0c, v75
	v_fmamk_f16 v73, v4, 0x3a0c, v3
	v_add_f16_e32 v60, v60, v70
	v_add_f16_e32 v70, v77, v72
	v_sub_f16_e32 v72, v5, v2
	v_add_f16_e32 v2, v5, v2
	v_add_f16_e32 v68, v68, v69
	v_fmamk_f16 v69, v78, 0xb93d, v71
	v_add_f16_e32 v62, v73, v62
	v_add_f16_e32 v73, v63, v55
	v_mul_f16_e32 v5, 0xba0c, v72
	v_fma_f16 v71, v78, 0xb93d, -v71
	v_fmac_f16_e32 v3, 0xba0c, v4
	v_sub_f16_e32 v4, v63, v55
	v_mul_f16_e32 v55, 0xb93d, v2
	v_fmamk_f16 v63, v73, 0xb93d, v5
	v_add_f16_e32 v6, v71, v6
	v_add_f16_e32 v3, v3, v19
	v_mul_f16_e32 v19, 0x3beb, v72
	v_fmamk_f16 v71, v4, 0x3a0c, v55
	v_add_f16_e32 v20, v63, v20
	v_fma_f16 v5, v73, 0xb93d, -v5
	v_fmac_f16_e32 v55, 0xba0c, v4
	v_fmamk_f16 v63, v73, 0xb08e, v19
	v_add_f16_e32 v27, v71, v27
	v_mul_f16_e32 v71, 0xb08e, v2
	v_add_f16_e32 v5, v5, v58
	v_add_f16_e32 v32, v55, v32
	;; [unrolled: 1-line block ×3, first 2 shown]
	v_mul_f16_e32 v57, 0xb853, v72
	v_fmamk_f16 v58, v4, 0xbbeb, v71
	v_fma_f16 v19, v73, 0xb08e, -v19
	v_fmac_f16_e32 v71, 0x3beb, v4
	v_mul_f16_e32 v63, 0x3abb, v2
	v_fmamk_f16 v74, v73, 0x3abb, v57
	v_add_f16_e32 v58, v58, v59
	v_add_f16_e32 v19, v19, v28
	;; [unrolled: 1-line block ×3, first 2 shown]
	v_fmamk_f16 v56, v4, 0x3853, v63
	v_add_f16_e32 v59, v74, v61
	v_mul_f16_e32 v61, 0xb482, v72
	v_fma_f16 v57, v73, 0x3abb, -v57
	v_fmac_f16_e32 v63, 0xb853, v4
	v_add_f16_e32 v56, v56, v67
	v_mul_f16_e32 v67, 0xbbad, v2
	v_fmamk_f16 v71, v73, 0xbbad, v61
	v_add_f16_e32 v57, v57, v64
	v_add_f16_e32 v63, v63, v65
	v_mul_f16_e32 v64, 0x3b47, v72
	v_fmamk_f16 v65, v4, 0x3482, v67
	v_add_f16_e32 v69, v69, v76
	v_add_f16_e32 v66, v71, v66
	v_fma_f16 v61, v73, 0xbbad, -v61
	v_fmac_f16_e32 v67, 0xb482, v4
	v_fmamk_f16 v71, v73, 0x36a6, v64
	v_add_f16_e32 v65, v65, v68
	v_mul_f16_e32 v2, 0x36a6, v2
	v_sub_f16_e32 v68, v0, v1
	v_add_f16_e32 v0, v0, v1
	v_add_f16_e32 v60, v61, v60
	;; [unrolled: 1-line block ×4, first 2 shown]
	v_fmamk_f16 v69, v4, 0xbb47, v2
	v_fma_f16 v64, v73, 0x36a6, -v64
	v_add_f16_e32 v1, v29, v30
	v_mul_f16_e32 v70, 0xb482, v68
	v_fmac_f16_e32 v2, 0x3b47, v4
	v_sub_f16_e32 v4, v29, v30
	v_mul_f16_e32 v29, 0xbbad, v0
	v_add_f16_e32 v30, v69, v62
	v_fmamk_f16 v62, v1, 0xbbad, v70
	v_add_f16_e32 v6, v64, v6
	v_add_f16_e32 v2, v2, v3
	v_fmamk_f16 v3, v4, 0x3482, v29
	v_mul_f16_e32 v64, 0x3853, v68
	v_fmac_f16_e32 v29, 0xb482, v4
	v_add_f16_e32 v20, v62, v20
	v_fma_f16 v62, v1, 0xbbad, -v70
	v_add_f16_e32 v3, v3, v27
	v_fmamk_f16 v27, v1, 0x3abb, v64
	v_mul_f16_e32 v69, 0x3abb, v0
	v_add_f16_e32 v29, v29, v32
	v_mul_f16_e32 v32, 0xba0c, v68
	v_add_f16_e32 v5, v62, v5
	v_add_f16_e32 v27, v27, v55
	v_fmamk_f16 v55, v4, 0xb853, v69
	v_fma_f16 v62, v1, 0x3abb, -v64
	v_fmamk_f16 v64, v1, 0xb93d, v32
	v_mul_f16_e32 v70, 0xb93d, v0
	v_fma_f16 v32, v1, 0xb93d, -v32
	v_add_f16_e32 v55, v55, v58
	v_add_f16_e32 v19, v62, v19
	;; [unrolled: 1-line block ×3, first 2 shown]
	v_fmamk_f16 v59, v4, 0x3a0c, v70
	v_mul_f16_e32 v62, 0x3b47, v68
	v_fmac_f16_e32 v70, 0xba0c, v4
	v_mul_f16_e32 v64, 0x36a6, v0
	v_add_f16_e32 v32, v32, v57
	v_add_f16_e32 v56, v59, v56
	v_fmamk_f16 v59, v1, 0x36a6, v62
	v_add_f16_e32 v57, v70, v63
	v_fmamk_f16 v63, v4, 0xbb47, v64
	v_mul_f16_e32 v0, 0xb08e, v0
	v_fma_f16 v62, v1, 0x36a6, -v62
	v_add_f16_e32 v59, v59, v66
	v_mul_f16_e32 v66, 0xbbeb, v68
	v_add_f16_e32 v63, v63, v65
	v_fmamk_f16 v65, v4, 0x3beb, v0
	v_fmac_f16_e32 v0, 0xbbeb, v4
	v_add_f16_e32 v60, v62, v60
	v_fmac_f16_e32 v64, 0x3b47, v4
	v_fmamk_f16 v62, v1, 0xb08e, v66
	v_fma_f16 v1, v1, 0xb08e, -v66
	v_fmac_f16_e32 v69, 0x3853, v4
	v_add_f16_e32 v0, v0, v2
	v_pack_b32_f16 v2, v7, v31
	v_pack_b32_f16 v3, v20, v3
	v_add_f16_e32 v4, v64, v61
	v_add_f16_e32 v61, v62, v67
	;; [unrolled: 1-line block ×5, first 2 shown]
	ds_store_2addr_b32 v80, v2, v3 offset1:8
	v_pack_b32_f16 v2, v27, v55
	v_pack_b32_f16 v3, v58, v56
	;; [unrolled: 1-line block ×9, first 2 shown]
	ds_store_2addr_b32 v80, v2, v3 offset0:16 offset1:24
	ds_store_2addr_b32 v80, v6, v7 offset0:32 offset1:40
	;; [unrolled: 1-line block ×4, first 2 shown]
	ds_store_b32 v80, v5 offset:320
	global_wb scope:SCOPE_SE
	s_wait_dscnt 0x0
	s_barrier_signal -1
	s_barrier_wait -1
	global_inv scope:SCOPE_SE
	ds_load_2addr_b32 v[0:1], v33 offset1:88
	ds_load_2addr_b32 v[2:3], v24 offset0:48 offset1:136
	ds_load_2addr_b32 v[4:5], v26 offset0:96 offset1:184
	ds_load_2addr_b32 v[6:7], v25 offset0:16 offset1:104
	ds_load_2addr_b32 v[19:20], v23 offset0:64 offset1:152
	ds_load_b32 v27, v33 offset:3520
	s_wait_dscnt 0x5
	v_lshrrev_b32_e32 v29, 16, v1
	s_wait_dscnt 0x4
	v_lshrrev_b32_e32 v30, 16, v2
	v_lshrrev_b32_e32 v31, 16, v3
	s_wait_dscnt 0x3
	v_lshrrev_b32_e32 v32, 16, v4
	v_mul_f16_e32 v60, v106, v1
	v_mul_f16_e32 v59, v106, v29
	;; [unrolled: 1-line block ×3, first 2 shown]
	v_lshrrev_b32_e32 v55, 16, v5
	v_lshrrev_b32_e32 v28, 16, v0
	s_wait_dscnt 0x2
	v_lshrrev_b32_e32 v56, 16, v6
	v_fmac_f16_e32 v59, v12, v1
	v_fma_f16 v1, v12, v29, -v60
	v_mul_f16_e32 v12, v105, v2
	v_fmac_f16_e32 v62, v13, v2
	v_mul_f16_e32 v2, v104, v31
	v_mul_f16_e32 v29, v104, v3
	;; [unrolled: 1-line block ×3, first 2 shown]
	v_fma_f16 v12, v13, v30, -v12
	v_mul_f16_e32 v13, v103, v4
	v_fmac_f16_e32 v2, v14, v3
	v_fma_f16 v3, v14, v31, -v29
	v_fmac_f16_e32 v60, v15, v4
	v_mul_f16_e32 v4, v102, v55
	v_add_f16_e32 v14, v0, v59
	v_fma_f16 v13, v15, v32, -v13
	v_mul_f16_e32 v15, v102, v5
	v_mul_f16_e32 v29, v101, v56
	v_fmac_f16_e32 v4, v8, v5
	v_add_f16_e32 v5, v28, v1
	v_add_f16_e32 v14, v14, v62
	v_lshrrev_b32_e32 v57, 16, v7
	v_fmac_f16_e32 v29, v9, v6
	v_mul_f16_e32 v6, v101, v6
	v_add_f16_e32 v5, v5, v12
	v_add_f16_e32 v14, v14, v2
	s_wait_dscnt 0x1
	v_lshrrev_b32_e32 v58, 16, v19
	v_fma_f16 v8, v8, v55, -v15
	v_mul_f16_e32 v15, v100, v57
	v_mul_f16_e32 v30, v100, v7
	v_fma_f16 v6, v9, v56, -v6
	v_add_f16_e32 v5, v5, v3
	v_add_f16_e32 v9, v14, v60
	v_lshrrev_b32_e32 v61, 16, v20
	v_fmac_f16_e32 v15, v10, v7
	v_fma_f16 v7, v10, v57, -v30
	v_mul_f16_e32 v10, v99, v58
	v_add_f16_e32 v5, v5, v13
	v_add_f16_e32 v9, v9, v4
	v_mul_f16_e32 v14, v99, v19
	s_wait_dscnt 0x0
	v_lshrrev_b32_e32 v63, 16, v27
	v_mul_f16_e32 v30, v97, v61
	v_fmac_f16_e32 v10, v11, v19
	v_add_f16_e32 v5, v5, v8
	v_add_f16_e32 v9, v9, v29
	v_fma_f16 v11, v11, v58, -v14
	v_mul_f16_e32 v14, v98, v27
	v_fmac_f16_e32 v30, v21, v20
	v_add_f16_e32 v5, v5, v6
	v_add_f16_e32 v9, v9, v15
	v_mul_f16_e32 v19, v97, v20
	v_mul_f16_e32 v20, v98, v63
	v_fma_f16 v14, v22, v63, -v14
	v_add_f16_e32 v5, v5, v7
	v_add_f16_e32 v9, v9, v10
	v_fma_f16 v19, v21, v61, -v19
	v_fmac_f16_e32 v20, v22, v27
	v_sub_f16_e32 v21, v1, v14
	v_add_f16_e32 v5, v5, v11
	v_add_f16_e32 v9, v9, v30
	;; [unrolled: 1-line block ×4, first 2 shown]
	v_mul_f16_e32 v27, 0xb853, v21
	v_sub_f16_e32 v70, v12, v19
	v_add_f16_e32 v5, v5, v19
	v_sub_f16_e32 v31, v59, v20
	v_mul_f16_e32 v32, 0x3abb, v1
	v_fmamk_f16 v55, v22, 0x3abb, v27
	v_add_f16_e32 v9, v9, v20
	v_mul_f16_e32 v20, 0xbb47, v21
	v_mul_f16_e32 v57, 0x36a6, v1
	;; [unrolled: 1-line block ×8, first 2 shown]
	v_add_f16_e32 v72, v62, v30
	v_mul_f16_e32 v73, 0xbb47, v70
	v_add_f16_e32 v12, v12, v19
	v_add_f16_e32 v5, v5, v14
	v_fmamk_f16 v14, v31, 0x3853, v32
	v_add_f16_e32 v55, v0, v55
	v_fma_f16 v27, v22, 0x3abb, -v27
	v_fmac_f16_e32 v32, 0xb853, v31
	v_fmamk_f16 v56, v22, 0x36a6, v20
	v_fmamk_f16 v59, v31, 0x3b47, v57
	v_fma_f16 v20, v22, 0x36a6, -v20
	v_fmac_f16_e32 v57, 0xbb47, v31
	v_fmamk_f16 v61, v22, 0xb08e, v58
	v_fmamk_f16 v64, v31, 0x3beb, v63
	;; [unrolled: 4-line block ×4, first 2 shown]
	v_fma_f16 v19, v22, 0xbbad, -v21
	v_fmac_f16_e32 v1, 0xb482, v31
	v_sub_f16_e32 v21, v62, v30
	v_fmamk_f16 v22, v72, 0x36a6, v73
	v_mul_f16_e32 v30, 0x36a6, v12
	v_add_f16_e32 v14, v28, v14
	v_add_f16_e32 v27, v0, v27
	;; [unrolled: 1-line block ×20, first 2 shown]
	v_fmamk_f16 v22, v21, 0x3b47, v30
	v_mul_f16_e32 v28, 0xba0c, v70
	v_fma_f16 v55, v72, 0x36a6, -v73
	v_fmac_f16_e32 v30, 0xbb47, v21
	v_mul_f16_e32 v62, 0xb93d, v12
	v_add_f16_e32 v14, v22, v14
	v_fmamk_f16 v22, v72, 0xb93d, v28
	v_add_f16_e32 v27, v55, v27
	v_add_f16_e32 v30, v30, v32
	v_fmamk_f16 v32, v21, 0x3a0c, v62
	v_mul_f16_e32 v55, 0x3482, v70
	v_fma_f16 v28, v72, 0xb93d, -v28
	v_fmac_f16_e32 v62, 0xba0c, v21
	v_add_f16_e32 v22, v22, v56
	v_add_f16_e32 v32, v32, v59
	v_fmamk_f16 v56, v72, 0xbbad, v55
	v_mul_f16_e32 v59, 0xbbad, v12
	v_add_f16_e32 v20, v28, v20
	v_add_f16_e32 v28, v62, v57
	v_mul_f16_e32 v57, 0x3beb, v70
	v_add_f16_e32 v56, v56, v61
	v_fmamk_f16 v61, v21, 0xb482, v59
	v_fma_f16 v55, v72, 0xbbad, -v55
	v_fmac_f16_e32 v59, 0x3482, v21
	v_fmamk_f16 v62, v72, 0xb08e, v57
	v_mul_f16_e32 v71, 0xb08e, v12
	v_mul_f16_e32 v12, 0x3abb, v12
	v_add_f16_e32 v55, v55, v58
	v_add_f16_e32 v58, v59, v63
	;; [unrolled: 1-line block ×3, first 2 shown]
	v_fmamk_f16 v62, v21, 0xbbeb, v71
	v_fma_f16 v57, v72, 0xb08e, -v57
	v_fmac_f16_e32 v71, 0x3beb, v21
	v_mul_f16_e32 v63, 0x3853, v70
	v_fmamk_f16 v67, v21, 0xb853, v12
	v_add_f16_e32 v61, v61, v64
	v_add_f16_e32 v57, v57, v65
	;; [unrolled: 1-line block ×3, first 2 shown]
	v_sub_f16_e32 v66, v3, v11
	v_add_f16_e32 v3, v3, v11
	v_fmamk_f16 v64, v72, 0x3abb, v63
	v_add_f16_e32 v31, v67, v31
	v_add_f16_e32 v67, v2, v10
	v_mul_f16_e32 v11, 0xbbeb, v66
	v_fma_f16 v63, v72, 0x3abb, -v63
	v_fmac_f16_e32 v12, 0x3853, v21
	v_sub_f16_e32 v2, v2, v10
	v_mul_f16_e32 v10, 0xb08e, v3
	v_fmamk_f16 v21, v67, 0xb08e, v11
	v_add_f16_e32 v0, v63, v0
	v_add_f16_e32 v1, v12, v1
	v_mul_f16_e32 v12, 0x3482, v66
	v_fmamk_f16 v63, v2, 0x3beb, v10
	v_add_f16_e32 v19, v21, v19
	v_fma_f16 v11, v67, 0xb08e, -v11
	v_fmac_f16_e32 v10, 0xbbeb, v2
	v_fmamk_f16 v21, v67, 0xbbad, v12
	v_add_f16_e32 v14, v63, v14
	v_mul_f16_e32 v63, 0xbbad, v3
	v_add_f16_e32 v11, v11, v27
	v_add_f16_e32 v10, v10, v30
	;; [unrolled: 1-line block ×3, first 2 shown]
	v_mul_f16_e32 v22, 0x3b47, v66
	v_fmamk_f16 v27, v2, 0xb482, v63
	v_fma_f16 v12, v67, 0xbbad, -v12
	v_fmac_f16_e32 v63, 0x3482, v2
	v_mul_f16_e32 v30, 0x36a6, v3
	v_add_f16_e32 v62, v62, v68
	v_fmamk_f16 v68, v67, 0x36a6, v22
	v_add_f16_e32 v12, v12, v20
	v_add_f16_e32 v20, v63, v28
	v_fmamk_f16 v28, v2, 0xbb47, v30
	v_add_f16_e32 v27, v27, v32
	v_add_f16_e32 v32, v68, v56
	v_mul_f16_e32 v56, 0xb853, v66
	v_fma_f16 v22, v67, 0x36a6, -v22
	v_fmac_f16_e32 v30, 0x3b47, v2
	v_add_f16_e32 v28, v28, v61
	v_mul_f16_e32 v61, 0x3abb, v3
	v_fmamk_f16 v63, v67, 0x3abb, v56
	v_add_f16_e32 v22, v22, v55
	v_add_f16_e32 v30, v30, v58
	v_mul_f16_e32 v55, 0xba0c, v66
	v_fmamk_f16 v58, v2, 0x3853, v61
	v_add_f16_e32 v64, v64, v69
	v_add_f16_e32 v59, v63, v59
	v_fma_f16 v56, v67, 0x3abb, -v56
	v_fmac_f16_e32 v61, 0xb853, v2
	v_fmamk_f16 v63, v67, 0xb93d, v55
	v_add_f16_e32 v58, v58, v62
	v_mul_f16_e32 v3, 0xb93d, v3
	v_sub_f16_e32 v62, v13, v7
	v_add_f16_e32 v7, v13, v7
	v_add_f16_e32 v56, v56, v57
	;; [unrolled: 1-line block ×4, first 2 shown]
	v_fmamk_f16 v63, v2, 0x3a0c, v3
	v_fma_f16 v55, v67, 0xb93d, -v55
	v_add_f16_e32 v13, v60, v15
	v_mul_f16_e32 v64, 0xba0c, v62
	v_fmac_f16_e32 v3, 0xba0c, v2
	v_sub_f16_e32 v2, v60, v15
	v_mul_f16_e32 v15, 0xb93d, v7
	v_add_f16_e32 v0, v55, v0
	v_fmamk_f16 v60, v13, 0xb93d, v64
	v_add_f16_e32 v1, v3, v1
	v_mul_f16_e32 v55, 0x3beb, v62
	v_fmamk_f16 v3, v2, 0x3a0c, v15
	v_fmac_f16_e32 v15, 0xba0c, v2
	v_add_f16_e32 v31, v63, v31
	v_add_f16_e32 v19, v60, v19
	v_fma_f16 v60, v13, 0xb93d, -v64
	v_add_f16_e32 v3, v3, v14
	v_fmamk_f16 v14, v13, 0xb08e, v55
	v_mul_f16_e32 v63, 0xb08e, v7
	v_add_f16_e32 v10, v15, v10
	v_mul_f16_e32 v15, 0xb853, v62
	v_add_f16_e32 v11, v60, v11
	v_add_f16_e32 v14, v14, v21
	v_fmamk_f16 v21, v2, 0xbbeb, v63
	v_fma_f16 v55, v13, 0xb08e, -v55
	v_fmamk_f16 v60, v13, 0x3abb, v15
	v_mul_f16_e32 v64, 0x3abb, v7
	v_fma_f16 v15, v13, 0x3abb, -v15
	v_add_f16_e32 v21, v21, v27
	v_add_f16_e32 v12, v55, v12
	;; [unrolled: 1-line block ×3, first 2 shown]
	v_fmamk_f16 v32, v2, 0x3853, v64
	v_mul_f16_e32 v55, 0xb482, v62
	v_mul_f16_e32 v60, 0xbbad, v7
	v_add_f16_e32 v15, v15, v22
	v_mul_f16_e32 v62, 0x3b47, v62
	v_add_f16_e32 v28, v32, v28
	v_fmamk_f16 v32, v13, 0xbbad, v55
	v_fmamk_f16 v22, v2, 0x3482, v60
	v_fma_f16 v55, v13, 0xbbad, -v55
	v_fmac_f16_e32 v60, 0xb482, v2
	v_mul_f16_e32 v7, 0x36a6, v7
	v_fmac_f16_e32 v63, 0x3beb, v2
	v_add_f16_e32 v22, v22, v58
	v_fmamk_f16 v58, v13, 0x36a6, v62
	v_add_f16_e32 v55, v55, v56
	v_sub_f16_e32 v56, v8, v6
	v_add_f16_e32 v57, v60, v57
	v_add_f16_e32 v60, v4, v29
	;; [unrolled: 1-line block ×4, first 2 shown]
	v_mul_f16_e32 v61, 0xb482, v56
	v_fmac_f16_e32 v64, 0xb853, v2
	v_add_f16_e32 v32, v32, v59
	v_fmamk_f16 v59, v2, 0xbb47, v7
	v_fma_f16 v8, v13, 0x36a6, -v62
	v_fmac_f16_e32 v7, 0x3b47, v2
	v_sub_f16_e32 v2, v4, v29
	v_fmamk_f16 v4, v60, 0xbbad, v61
	v_mul_f16_e32 v13, 0xbbad, v6
	v_add_f16_e32 v29, v59, v31
	v_add_f16_e32 v0, v8, v0
	;; [unrolled: 1-line block ×4, first 2 shown]
	v_fmamk_f16 v7, v2, 0x3482, v13
	v_mul_f16_e32 v8, 0x3853, v56
	v_fma_f16 v19, v60, 0xbbad, -v61
	v_fmac_f16_e32 v13, 0xb482, v2
	v_mul_f16_e32 v31, 0x3abb, v6
	v_add_f16_e32 v3, v7, v3
	v_fmamk_f16 v7, v60, 0x3abb, v8
	v_add_f16_e32 v11, v19, v11
	v_add_f16_e32 v10, v13, v10
	v_fmamk_f16 v13, v2, 0xb853, v31
	v_mul_f16_e32 v19, 0xba0c, v56
	v_add_f16_e32 v20, v63, v20
	v_add_f16_e32 v7, v7, v14
	v_fma_f16 v8, v60, 0x3abb, -v8
	v_fmac_f16_e32 v31, 0x3853, v2
	v_add_f16_e32 v13, v13, v21
	v_fmamk_f16 v14, v60, 0xb93d, v19
	v_mul_f16_e32 v21, 0xb93d, v6
	v_add_f16_e32 v30, v64, v30
	v_add_f16_e32 v8, v8, v12
	;; [unrolled: 1-line block ×3, first 2 shown]
	v_mul_f16_e32 v20, 0x3b47, v56
	v_add_f16_e32 v14, v14, v27
	v_fmamk_f16 v27, v2, 0x3a0c, v21
	v_fma_f16 v19, v60, 0xb93d, -v19
	v_fmac_f16_e32 v21, 0xba0c, v2
	v_fmamk_f16 v31, v60, 0x36a6, v20
	v_mul_f16_e32 v59, 0x36a6, v6
	v_mul_f16_e32 v6, 0xb08e, v6
	v_add_f16_e32 v15, v19, v15
	v_add_f16_e32 v19, v21, v30
	v_mul_f16_e32 v30, 0xbbeb, v56
	v_add_f16_e32 v27, v27, v28
	v_add_f16_e32 v21, v31, v32
	v_fmamk_f16 v28, v2, 0xbb47, v59
	v_fmamk_f16 v32, v2, 0x3beb, v6
	;; [unrolled: 1-line block ×3, first 2 shown]
	v_fma_f16 v20, v60, 0x36a6, -v20
	v_fmac_f16_e32 v59, 0x3b47, v2
	v_fma_f16 v30, v60, 0xb08e, -v30
	v_fmac_f16_e32 v6, 0xbbeb, v2
	v_pack_b32_f16 v2, v9, v5
	v_pack_b32_f16 v3, v4, v3
	v_add_f16_e32 v22, v28, v22
	v_add_f16_e32 v4, v31, v58
	;; [unrolled: 1-line block ×7, first 2 shown]
	ds_store_2addr_b32 v33, v2, v3 offset1:88
	v_pack_b32_f16 v2, v7, v13
	v_pack_b32_f16 v3, v14, v27
	;; [unrolled: 1-line block ×9, first 2 shown]
	ds_store_2addr_b32 v24, v2, v3 offset0:48 offset1:136
	ds_store_2addr_b32 v26, v6, v4 offset0:96 offset1:184
	;; [unrolled: 1-line block ×4, first 2 shown]
	ds_store_b32 v33, v8 offset:3520
	global_wb scope:SCOPE_SE
	s_wait_dscnt 0x0
	s_barrier_signal -1
	s_barrier_wait -1
	global_inv scope:SCOPE_SE
	ds_load_2addr_b32 v[1:2], v33 offset1:88
	s_wait_dscnt 0x0
	v_lshrrev_b32_e32 v0, 16, v1
	s_delay_alu instid0(VALU_DEP_1) | instskip(NEXT) | instid1(VALU_DEP_1)
	v_mul_f16_e32 v3, v54, v0
	v_fmac_f16_e32 v3, v52, v1
	v_mul_f16_e32 v1, v54, v1
	s_delay_alu instid0(VALU_DEP_2) | instskip(NEXT) | instid1(VALU_DEP_2)
	v_cvt_f32_f16_e32 v3, v3
	v_fma_f16 v0, v52, v0, -v1
	s_delay_alu instid0(VALU_DEP_2) | instskip(NEXT) | instid1(VALU_DEP_2)
	v_cvt_f64_f32_e32 v[3:4], v3
	v_cvt_f32_f16_e32 v0, v0
	s_delay_alu instid0(VALU_DEP_1) | instskip(SKIP_3) | instid1(VALU_DEP_1)
	v_cvt_f64_f32_e32 v[5:6], v0
	ds_load_2addr_b32 v[0:1], v26 offset0:96 offset1:228
	s_wait_dscnt 0x0
	v_lshrrev_b32_e32 v9, 16, v1
	v_mul_f16_e32 v7, v53, v9
	s_delay_alu instid0(VALU_DEP_1) | instskip(SKIP_3) | instid1(VALU_DEP_3)
	v_fmac_f16_e32 v7, v50, v1
	s_wait_alu 0xfffe
	v_mul_f64_e32 v[3:4], s[10:11], v[3:4]
	v_mul_f16_e32 v1, v53, v1
	v_cvt_f32_f16_e32 v7, v7
	v_mul_f64_e32 v[5:6], s[10:11], v[5:6]
	s_delay_alu instid0(VALU_DEP_3) | instskip(NEXT) | instid1(VALU_DEP_1)
	v_fma_f16 v1, v50, v9, -v1
	v_cvt_f32_f16_e32 v1, v1
	v_and_or_b32 v3, 0x1ff, v4, v3
	v_lshrrev_b32_e32 v8, 8, v4
	v_bfe_u32 v10, v4, 20, 11
	s_delay_alu instid0(VALU_DEP_3)
	v_cmp_ne_u32_e64 s0, 0, v3
	v_and_or_b32 v5, 0x1ff, v6, v5
	v_lshrrev_b32_e32 v14, 8, v6
	v_bfe_u32 v15, v6, 20, 11
	v_lshrrev_b32_e32 v6, 16, v6
	s_wait_alu 0xf1ff
	v_cndmask_b32_e64 v3, 0, 1, s0
	v_cmp_ne_u32_e64 s0, 0, v5
	v_sub_nc_u32_e32 v9, 0x3f1, v15
	v_add_nc_u32_e32 v15, 0xfffffc10, v15
	s_delay_alu instid0(VALU_DEP_4)
	v_and_or_b32 v3, 0xffe, v8, v3
	v_sub_nc_u32_e32 v8, 0x3f1, v10
	s_wait_alu 0xf1ff
	v_cndmask_b32_e64 v5, 0, 1, s0
	v_cmp_gt_i32_e64 s2, 1, v15
	v_or_b32_e32 v11, 0x1000, v3
	v_med3_i32 v12, v8, 0, 13
	v_cvt_f64_f32_e32 v[7:8], v7
	v_and_or_b32 v5, 0xffe, v14, v5
	v_add_nc_u32_e32 v14, 0xfffffc10, v10
	s_delay_alu instid0(VALU_DEP_4) | instskip(NEXT) | instid1(VALU_DEP_3)
	v_lshrrev_b32_e32 v13, v12, v11
	v_or_b32_e32 v19, 0x1000, v5
	s_delay_alu instid0(VALU_DEP_2) | instskip(NEXT) | instid1(VALU_DEP_1)
	v_lshlrev_b32_e32 v12, v12, v13
	v_cmp_ne_u32_e64 s0, v12, v11
	v_med3_i32 v12, v9, 0, 13
	v_cvt_f64_f32_e32 v[9:10], v1
	s_wait_alu 0xf1ff
	s_delay_alu instid0(VALU_DEP_3) | instskip(SKIP_1) | instid1(VALU_DEP_2)
	v_cndmask_b32_e64 v11, 0, 1, s0
	v_cmp_gt_i32_e64 s0, 1, v14
	v_or_b32_e32 v1, v13, v11
	v_lshl_or_b32 v11, v14, 12, v3
	v_lshrrev_b32_e32 v13, v12, v19
	s_wait_alu 0xf1ff
	s_delay_alu instid0(VALU_DEP_2) | instskip(NEXT) | instid1(VALU_DEP_2)
	v_cndmask_b32_e64 v20, v11, v1, s0
	v_lshlrev_b32_e32 v1, v12, v13
	v_mad_co_u64_u32 v[11:12], null, s6, v18, 0
	s_delay_alu instid0(VALU_DEP_3) | instskip(NEXT) | instid1(VALU_DEP_3)
	v_and_b32_e32 v21, 7, v20
	v_cmp_ne_u32_e64 s0, v1, v19
	v_mul_f64_e32 v[7:8], s[10:11], v[7:8]
	s_delay_alu instid0(VALU_DEP_4) | instskip(SKIP_1) | instid1(VALU_DEP_3)
	v_mov_b32_e32 v1, v12
	s_wait_alu 0xf1ff
	v_cndmask_b32_e64 v19, 0, 1, s0
	v_cmp_lt_i32_e64 s0, 5, v21
	v_cmp_eq_u32_e64 s1, 3, v21
	v_lshl_or_b32 v21, v15, 12, v5
	s_delay_alu instid0(VALU_DEP_4) | instskip(SKIP_3) | instid1(VALU_DEP_3)
	v_or_b32_e32 v19, v13, v19
	v_mad_co_u64_u32 v[12:13], null, s7, v18, v[1:2]
	v_lshrrev_b32_e32 v1, 2, v20
	s_or_b32 s0, s1, s0
	v_cndmask_b32_e64 v13, v21, v19, s2
	v_cmp_eq_u32_e64 s2, 0x40f, v14
	v_lshrrev_b32_e32 v19, 16, v2
	s_wait_alu 0xfffe
	v_add_co_ci_u32_e64 v1, s0, 0, v1, s0
	v_cmp_ne_u32_e64 s0, 0, v3
	v_and_b32_e32 v18, 7, v13
	v_mul_f64_e32 v[9:10], s[10:11], v[9:10]
	s_wait_alu 0xf1ff
	s_delay_alu instid0(VALU_DEP_3) | instskip(SKIP_2) | instid1(VALU_DEP_3)
	v_cndmask_b32_e64 v3, 0, 1, s0
	v_cmp_gt_i32_e64 s0, 31, v14
	v_cmp_eq_u32_e64 s1, 3, v18
	v_lshl_or_b32 v3, v3, 9, 0x7c00
	s_wait_alu 0xf1ff
	s_delay_alu instid0(VALU_DEP_3) | instskip(SKIP_2) | instid1(VALU_DEP_3)
	v_cndmask_b32_e64 v1, 0x7c00, v1, s0
	v_cmp_lt_i32_e64 s0, 5, v18
	v_lshrrev_b32_e32 v18, 16, v4
	v_cndmask_b32_e64 v1, v1, v3, s2
	v_lshrrev_b32_e32 v3, 2, v13
	s_delay_alu instid0(VALU_DEP_4)
	s_or_b32 s0, s1, s0
	v_and_or_b32 v7, 0x1ff, v8, v7
	v_bfe_u32 v21, v8, 20, 11
	s_wait_alu 0xfffe
	v_add_co_ci_u32_e64 v3, s0, 0, v3, s0
	v_cmp_ne_u32_e64 s0, 0, v5
	v_mul_f16_e32 v5, v51, v19
	v_lshrrev_b32_e32 v20, 8, v8
	v_and_or_b32 v18, 0x8000, v18, v1
	v_lshrrev_b32_e32 v8, 16, v8
	s_wait_alu 0xf1ff
	v_cndmask_b32_e64 v4, 0, 1, s0
	v_cmp_gt_i32_e64 s0, 31, v15
	v_fmac_f16_e32 v5, v49, v2
	v_and_b32_e32 v18, 0xffff, v18
	s_delay_alu instid0(VALU_DEP_4)
	v_lshl_or_b32 v14, v4, 9, 0x7c00
	s_wait_alu 0xf1ff
	v_cndmask_b32_e64 v13, 0x7c00, v3, s0
	v_cmp_ne_u32_e64 s0, 0, v7
	v_cvt_f32_f16_e32 v5, v5
	v_mad_co_u64_u32 v[3:4], null, s4, v47, 0
	v_and_or_b32 v9, 0x1ff, v10, v9
	s_wait_alu 0xf1ff
	v_cndmask_b32_e64 v7, 0, 1, s0
	v_cmp_eq_u32_e64 s0, 0x40f, v15
	s_delay_alu instid0(VALU_DEP_4) | instskip(SKIP_1) | instid1(VALU_DEP_2)
	v_mov_b32_e32 v1, v4
	s_wait_alu 0xf1ff
	v_cndmask_b32_e64 v15, v13, v14, s0
	v_cvt_f64_f32_e32 v[13:14], v5
	v_sub_nc_u32_e32 v5, 0x3f1, v21
	v_and_or_b32 v7, 0xffe, v20, v7
	v_cmp_ne_u32_e64 s0, 0, v9
	v_and_or_b32 v6, 0x8000, v6, v15
	v_lshrrev_b32_e32 v9, 8, v10
	v_med3_i32 v22, v5, 0, 13
	v_mad_co_u64_u32 v[4:5], null, s5, v47, v[1:2]
	v_mul_f16_e32 v1, v51, v2
	v_or_b32_e32 v20, 0x1000, v7
	s_wait_alu 0xf1ff
	v_cndmask_b32_e64 v2, 0, 1, s0
	v_bfe_u32 v15, v10, 20, 11
	v_lshl_or_b32 v18, v6, 16, v18
	v_fma_f16 v1, v49, v19, -v1
	v_lshrrev_b32_e32 v5, v22, v20
	v_and_or_b32 v9, 0xffe, v9, v2
	v_sub_nc_u32_e32 v2, 0x3f1, v15
	v_lshlrev_b64_e32 v[3:4], 2, v[3:4]
	v_cvt_f32_f16_e32 v1, v1
	v_lshlrev_b32_e32 v19, v22, v5
	v_add_nc_u32_e32 v15, 0xfffffc10, v15
	v_med3_i32 v22, v2, 0, 13
	v_lshrrev_b32_e32 v10, 16, v10
	v_cvt_f64_f32_e32 v[1:2], v1
	v_cmp_ne_u32_e64 s0, v19, v20
	v_add_nc_u32_e32 v20, 0xfffffc10, v21
	v_or_b32_e32 v21, 0x1000, v9
	s_wait_alu 0xf1ff
	s_delay_alu instid0(VALU_DEP_3) | instskip(NEXT) | instid1(VALU_DEP_3)
	v_cndmask_b32_e64 v19, 0, 1, s0
	v_lshl_or_b32 v26, v20, 12, v7
	s_delay_alu instid0(VALU_DEP_3) | instskip(SKIP_1) | instid1(VALU_DEP_4)
	v_lshrrev_b32_e32 v27, v22, v21
	v_cmp_gt_i32_e64 s0, 1, v20
	v_or_b32_e32 v19, v5, v19
	v_lshlrev_b64_e32 v[5:6], 2, v[11:12]
	s_delay_alu instid0(VALU_DEP_4) | instskip(SKIP_3) | instid1(VALU_DEP_4)
	v_lshlrev_b32_e32 v22, v22, v27
	v_mul_f64_e32 v[11:12], s[10:11], v[13:14]
	s_wait_alu 0xf1ff
	v_cndmask_b32_e64 v19, v26, v19, s0
	v_add_co_u32 v13, s0, s8, v5
	s_wait_alu 0xf1ff
	v_add_co_ci_u32_e64 v14, s0, s9, v6, s0
	s_delay_alu instid0(VALU_DEP_3)
	v_and_b32_e32 v26, 7, v19
	v_cmp_ne_u32_e64 s0, v22, v21
	ds_load_2addr_b32 v[5:6], v25 offset0:60 offset1:148
	v_add_co_u32 v3, s2, v13, v3
	v_cmp_eq_u32_e64 s1, 3, v26
	s_wait_alu 0xf1ff
	v_cndmask_b32_e64 v21, 0, 1, s0
	v_cmp_lt_i32_e64 s0, 5, v26
	v_lshrrev_b32_e32 v13, 2, v19
	v_add_co_ci_u32_e64 v4, s2, v14, v4, s2
	s_delay_alu instid0(VALU_DEP_4) | instskip(NEXT) | instid1(VALU_DEP_4)
	v_or_b32_e32 v21, v27, v21
	s_or_b32 s0, s1, s0
	v_lshl_or_b32 v22, v15, 12, v9
	v_cmp_gt_i32_e64 s2, 1, v15
	s_wait_alu 0xfffe
	v_add_co_ci_u32_e64 v13, s0, 0, v13, s0
	v_cmp_ne_u32_e64 s0, 0, v7
	v_mul_f64_e32 v[1:2], s[10:11], v[1:2]
	s_wait_alu 0xf1ff
	v_cndmask_b32_e64 v14, v22, v21, s2
	v_cmp_eq_u32_e64 s2, 0x40f, v20
	global_store_b32 v[3:4], v18, off
	v_cndmask_b32_e64 v7, 0, 1, s0
	v_cmp_gt_i32_e64 s0, 31, v20
	v_and_b32_e32 v19, 7, v14
	s_wait_dscnt 0x0
	v_lshrrev_b32_e32 v21, 16, v5
	v_lshl_or_b32 v7, v7, 9, 0x7c00
	s_wait_alu 0xf1ff
	v_cndmask_b32_e64 v13, 0x7c00, v13, s0
	v_cmp_lt_i32_e64 s0, 5, v19
	v_cmp_eq_u32_e64 s1, 3, v19
	v_mul_f16_e32 v19, v48, v21
	v_and_or_b32 v11, 0x1ff, v12, v11
	v_cndmask_b32_e64 v7, v13, v7, s2
	v_lshrrev_b32_e32 v13, 2, v14
	s_or_b32 s0, s1, s0
	v_fmac_f16_e32 v19, v45, v5
	v_bfe_u32 v22, v12, 20, 11
	v_and_or_b32 v7, 0x8000, v8, v7
	s_wait_alu 0xfffe
	v_add_co_ci_u32_e64 v20, s0, 0, v13, s0
	v_cmp_ne_u32_e64 s0, 0, v11
	v_cvt_f32_f16_e32 v13, v19
	v_lshrrev_b32_e32 v19, 8, v12
	v_and_b32_e32 v18, 0xffff, v7
	v_mul_f16_e32 v5, v48, v5
	s_wait_alu 0xf1ff
	v_cndmask_b32_e64 v11, 0, 1, s0
	v_cvt_f64_f32_e32 v[13:14], v13
	v_cmp_ne_u32_e64 s0, 0, v9
	v_lshrrev_b32_e32 v12, 16, v12
	v_fma_f16 v5, v45, v21, -v5
	v_and_or_b32 v11, 0xffe, v19, v11
	v_sub_nc_u32_e32 v19, 0x3f1, v22
	s_wait_alu 0xf1ff
	v_cndmask_b32_e64 v9, 0, 1, s0
	v_cmp_gt_i32_e64 s0, 31, v15
	v_cvt_f32_f16_e32 v5, v5
	v_or_b32_e32 v25, 0x1000, v11
	v_med3_i32 v19, v19, 0, 13
	v_lshl_or_b32 v9, v9, 9, 0x7c00
	s_wait_alu 0xf1ff
	v_cndmask_b32_e64 v20, 0x7c00, v20, s0
	v_cmp_eq_u32_e64 s0, 0x40f, v15
	v_and_or_b32 v1, 0x1ff, v2, v1
	v_lshrrev_b32_e32 v8, v19, v25
	s_wait_alu 0xf1ff
	s_delay_alu instid0(VALU_DEP_3) | instskip(NEXT) | instid1(VALU_DEP_3)
	v_cndmask_b32_e64 v9, v20, v9, s0
	v_cmp_ne_u32_e64 s0, 0, v1
	s_delay_alu instid0(VALU_DEP_3)
	v_lshlrev_b32_e32 v7, v19, v8
	v_bfe_u32 v19, v2, 20, 11
	v_add_nc_u32_e32 v20, 0xfffffc10, v22
	v_and_or_b32 v15, 0x8000, v10, v9
	s_wait_alu 0xf1ff
	v_cndmask_b32_e64 v1, 0, 1, s0
	v_cmp_ne_u32_e64 s0, v7, v25
	v_lshrrev_b32_e32 v9, 8, v2
	v_lshl_or_b32 v21, v20, 12, v11
	v_lshl_or_b32 v15, v15, 16, v18
	s_wait_alu 0xf1ff
	v_cndmask_b32_e64 v7, 0, 1, s0
	v_and_or_b32 v1, 0xffe, v9, v1
	v_sub_nc_u32_e32 v9, 0x3f1, v19
	v_cmp_gt_i32_e64 s0, 1, v20
	s_delay_alu instid0(VALU_DEP_4)
	v_or_b32_e32 v10, v8, v7
	v_cvt_f64_f32_e32 v[7:8], v5
	v_or_b32_e32 v5, 0x1000, v1
	v_med3_i32 v22, v9, 0, 13
	s_wait_alu 0xf1ff
	v_cndmask_b32_e64 v21, v21, v10, s0
	v_mul_f64_e32 v[9:10], s[10:11], v[13:14]
	ds_load_2addr_b32 v[13:14], v24 offset0:48 offset1:136
	v_lshrrev_b32_e32 v24, v22, v5
	s_mul_u64 s[0:1], s[4:5], 0x1e4
	v_and_b32_e32 v18, 7, v21
	s_wait_alu 0xfffe
	s_lshl_b64 s[8:9], s[0:1], 2
	s_wait_alu 0xfffe
	v_add_co_u32 v3, s0, v3, s8
	v_lshlrev_b32_e32 v22, v22, v24
	s_wait_alu 0xf1ff
	v_add_co_ci_u32_e64 v4, s0, s9, v4, s0
	v_cmp_lt_i32_e64 s0, 5, v18
	v_cmp_eq_u32_e64 s1, 3, v18
	v_lshrrev_b32_e32 v18, 2, v21
	v_cmp_ne_u32_e64 s2, v22, v5
	v_add_nc_u32_e32 v21, 0xfffffc10, v19
	global_store_b32 v[3:4], v15, off
	s_or_b32 s0, s1, s0
	s_wait_alu 0xfffe
	v_add_co_ci_u32_e64 v18, s0, 0, v18, s0
	v_cndmask_b32_e64 v5, 0, 1, s2
	v_cmp_ne_u32_e64 s0, 0, v11
	s_wait_dscnt 0x0
	v_lshrrev_b32_e32 v22, 16, v13
	v_lshl_or_b32 v19, v21, 12, v1
	v_or_b32_e32 v5, v24, v5
	s_wait_alu 0xf1ff
	v_cndmask_b32_e64 v11, 0, 1, s0
	v_cmp_gt_i32_e64 s0, 1, v21
	v_mul_f16_e32 v24, v46, v22
	s_delay_alu instid0(VALU_DEP_3) | instskip(SKIP_1) | instid1(VALU_DEP_3)
	v_lshl_or_b32 v11, v11, 9, 0x7c00
	s_wait_alu 0xf1ff
	v_cndmask_b32_e64 v5, v19, v5, s0
	v_cmp_gt_i32_e64 s0, 31, v20
	v_fmac_f16_e32 v24, v44, v13
	v_mul_f64_e32 v[7:8], s[10:11], v[7:8]
	v_and_or_b32 v9, 0x1ff, v10, v9
	v_and_b32_e32 v19, 7, v5
	s_wait_alu 0xf1ff
	v_cndmask_b32_e64 v18, 0x7c00, v18, s0
	v_cmp_eq_u32_e64 s0, 0x40f, v20
	v_lshrrev_b32_e32 v5, 2, v5
	v_cmp_ne_u32_e64 s2, 0, v9
	v_cmp_eq_u32_e64 s1, 3, v19
	v_lshrrev_b32_e32 v20, 8, v10
	s_wait_alu 0xf1ff
	v_cndmask_b32_e64 v11, v18, v11, s0
	v_cvt_f32_f16_e32 v18, v24
	v_cmp_lt_i32_e64 s0, 5, v19
	v_cndmask_b32_e64 v9, 0, 1, s2
	v_bfe_u32 v24, v10, 20, 11
	v_mul_f16_e32 v13, v46, v13
	v_cvt_f64_f32_e32 v[18:19], v18
	s_or_b32 s0, s1, s0
	v_and_or_b32 v9, 0xffe, v20, v9
	s_wait_alu 0xfffe
	v_add_co_ci_u32_e64 v5, s0, 0, v5, s0
	v_cmp_ne_u32_e64 s0, 0, v1
	v_sub_nc_u32_e32 v20, 0x3f1, v24
	v_fma_f16 v13, v44, v22, -v13
	v_or_b32_e32 v25, 0x1000, v9
	v_and_or_b32 v15, 0x8000, v12, v11
	s_wait_alu 0xf1ff
	v_cndmask_b32_e64 v1, 0, 1, s0
	v_cmp_gt_i32_e64 s0, 31, v21
	v_med3_i32 v20, v20, 0, 13
	v_cvt_f32_f16_e32 v13, v13
	s_movk_i32 s2, 0xfe74
	v_lshl_or_b32 v1, v1, 9, 0x7c00
	s_wait_alu 0xf1ff
	v_cndmask_b32_e64 v5, 0x7c00, v5, s0
	v_cmp_eq_u32_e64 s0, 0x40f, v21
	v_lshrrev_b32_e32 v22, v20, v25
	v_lshrrev_b32_e32 v21, 16, v2
	v_and_b32_e32 v15, 0xffff, v15
	s_mov_b32 s3, -1
	s_wait_alu 0xf1ff
	v_cndmask_b32_e64 v5, v5, v1, s0
	v_cvt_f64_f32_e32 v[1:2], v13
	v_lshlrev_b32_e32 v13, v20, v22
	v_and_or_b32 v7, 0x1ff, v8, v7
	v_add_nc_u32_e32 v20, 0xfffffc10, v24
	v_and_or_b32 v5, 0x8000, v21, v5
	v_lshrrev_b32_e32 v21, 8, v8
	v_cmp_ne_u32_e64 s0, v13, v25
	v_bfe_u32 v24, v8, 20, 11
	v_lshrrev_b32_e32 v8, 16, v8
	v_lshl_or_b32 v15, v5, 16, v15
	s_wait_alu 0xf1ff
	v_cndmask_b32_e64 v13, 0, 1, s0
	v_cmp_ne_u32_e64 s0, 0, v7
	v_mul_f64_e32 v[11:12], s[10:11], v[18:19]
	s_delay_alu instid0(VALU_DEP_3) | instskip(SKIP_1) | instid1(VALU_DEP_3)
	v_or_b32_e32 v13, v22, v13
	s_wait_alu 0xf1ff
	v_cndmask_b32_e64 v7, 0, 1, s0
	v_lshl_or_b32 v18, v20, 12, v9
	v_sub_nc_u32_e32 v19, 0x3f1, v24
	v_cmp_gt_i32_e64 s0, 1, v20
	v_lshrrev_b32_e32 v22, 16, v6
	v_and_or_b32 v7, 0xffe, v21, v7
	v_add_nc_u32_e32 v24, 0xfffffc10, v24
	v_med3_i32 v19, v19, 0, 13
	s_wait_alu 0xf1ff
	v_cndmask_b32_e64 v13, v18, v13, s0
	s_wait_alu 0xfffe
	s_mul_u64 s[0:1], s[4:5], s[2:3]
	v_or_b32_e32 v18, 0x1000, v7
	s_wait_alu 0xfffe
	s_lshl_b64 s[12:13], s[0:1], 2
	v_lshl_or_b32 v25, v24, 12, v7
	v_and_b32_e32 v5, 7, v13
	s_wait_alu 0xfffe
	v_add_co_u32 v3, s0, v3, s12
	v_lshrrev_b32_e32 v21, v19, v18
	s_wait_alu 0xf1ff
	v_add_co_ci_u32_e64 v4, s0, s13, v4, s0
	v_cmp_lt_i32_e64 s0, 5, v5
	v_cmp_eq_u32_e64 s1, 3, v5
	v_lshlrev_b32_e32 v19, v19, v21
	v_mul_f64_e32 v[1:2], s[10:11], v[1:2]
	v_lshrrev_b32_e32 v13, 2, v13
	v_mul_f16_e32 v5, v43, v22
	s_or_b32 s0, s1, s0
	v_cmp_ne_u32_e64 s2, v19, v18
	global_store_b32 v[3:4], v15, off
	s_wait_alu 0xfffe
	v_add_co_ci_u32_e64 v13, s0, 0, v13, s0
	v_fmac_f16_e32 v5, v42, v6
	s_wait_alu 0xf1ff
	v_cndmask_b32_e64 v18, 0, 1, s2
	v_cmp_ne_u32_e64 s0, 0, v9
	v_mul_f16_e32 v6, v43, v6
	v_cvt_f32_f16_e32 v5, v5
	s_delay_alu instid0(VALU_DEP_4)
	v_or_b32_e32 v21, v21, v18
	v_and_or_b32 v11, 0x1ff, v12, v11
	s_wait_alu 0xf1ff
	v_cndmask_b32_e64 v9, 0, 1, s0
	v_cmp_gt_i32_e64 s0, 1, v24
	v_cvt_f64_f32_e32 v[18:19], v5
	v_fma_f16 v6, v42, v22, -v6
	s_delay_alu instid0(VALU_DEP_4)
	v_lshl_or_b32 v9, v9, 9, 0x7c00
	s_wait_alu 0xf1ff
	v_cndmask_b32_e64 v5, v25, v21, s0
	v_cmp_ne_u32_e64 s0, 0, v11
	v_lshrrev_b32_e32 v21, 8, v12
	v_bfe_u32 v25, v12, 20, 11
	v_lshrrev_b32_e32 v12, 16, v12
	v_and_b32_e32 v26, 7, v5
	s_wait_alu 0xf1ff
	v_cndmask_b32_e64 v11, 0, 1, s0
	v_cmp_gt_i32_e64 s0, 31, v20
	v_lshrrev_b32_e32 v5, 2, v5
	v_cmp_eq_u32_e64 s1, 3, v26
	s_delay_alu instid0(VALU_DEP_4)
	v_and_or_b32 v11, 0xffe, v21, v11
	s_wait_alu 0xf1ff
	v_cndmask_b32_e64 v13, 0x7c00, v13, s0
	v_sub_nc_u32_e32 v21, 0x3f1, v25
	v_cmp_eq_u32_e64 s0, 0x40f, v20
	v_add_nc_u32_e32 v25, 0xfffffc10, v25
	v_and_or_b32 v1, 0x1ff, v2, v1
	s_delay_alu instid0(VALU_DEP_4)
	v_med3_i32 v20, v21, 0, 13
	s_wait_alu 0xf1ff
	v_cndmask_b32_e64 v13, v13, v9, s0
	v_or_b32_e32 v9, 0x1000, v11
	v_cmp_lt_i32_e64 s0, 5, v26
	v_lshrrev_b32_e32 v21, 16, v10
	v_lshrrev_b32_e32 v10, 8, v2
	s_delay_alu instid0(VALU_DEP_4) | instskip(NEXT) | instid1(VALU_DEP_4)
	v_lshrrev_b32_e32 v26, v20, v9
	s_or_b32 s0, s1, s0
	s_delay_alu instid0(VALU_DEP_3)
	v_and_or_b32 v13, 0x8000, v21, v13
	s_wait_alu 0xfffe
	v_add_co_ci_u32_e64 v27, s0, 0, v5, s0
	v_lshlrev_b32_e32 v5, v20, v26
	v_cmp_ne_u32_e64 s0, 0, v1
	v_bfe_u32 v20, v2, 20, 11
	v_lshrrev_b32_e32 v21, 16, v14
	v_and_b32_e32 v13, 0xffff, v13
	s_wait_alu 0xf1ff
	v_cndmask_b32_e64 v1, 0, 1, s0
	v_cmp_ne_u32_e64 s0, v5, v9
	v_sub_nc_u32_e32 v28, 0x3f1, v20
	v_cvt_f32_f16_e32 v9, v6
	v_mul_f64_e32 v[5:6], s[10:11], v[18:19]
	v_and_or_b32 v1, 0xffe, v10, v1
	s_wait_alu 0xf1ff
	v_cndmask_b32_e64 v22, 0, 1, s0
	v_cmp_ne_u32_e64 s0, 0, v7
	v_lshl_or_b32 v19, v25, 12, v11
	v_cvt_f64_f32_e32 v[9:10], v9
	v_add_nc_u32_e32 v20, 0xfffffc10, v20
	v_or_b32_e32 v18, v26, v22
	s_wait_alu 0xf1ff
	v_cndmask_b32_e64 v7, 0, 1, s0
	v_cmp_gt_i32_e64 s0, 31, v24
	v_or_b32_e32 v22, 0x1000, v1
	v_med3_i32 v26, v28, 0, 13
	s_delay_alu instid0(VALU_DEP_4) | instskip(SKIP_4) | instid1(VALU_DEP_1)
	v_lshl_or_b32 v7, v7, 9, 0x7c00
	s_wait_alu 0xf1ff
	v_cndmask_b32_e64 v27, 0x7c00, v27, s0
	v_cmp_gt_i32_e64 s0, 1, v25
	s_wait_alu 0xf1ff
	v_cndmask_b32_e64 v18, v19, v18, s0
	v_lshrrev_b32_e32 v19, v26, v22
	v_cmp_eq_u32_e64 s0, 0x40f, v24
	s_delay_alu instid0(VALU_DEP_3) | instskip(NEXT) | instid1(VALU_DEP_3)
	v_and_b32_e32 v24, 7, v18
	v_lshlrev_b32_e32 v26, v26, v19
	s_wait_alu 0xf1ff
	s_delay_alu instid0(VALU_DEP_3) | instskip(NEXT) | instid1(VALU_DEP_3)
	v_cndmask_b32_e64 v7, v27, v7, s0
	v_cmp_lt_i32_e64 s0, 5, v24
	s_delay_alu instid0(VALU_DEP_3) | instskip(NEXT) | instid1(VALU_DEP_3)
	v_cmp_ne_u32_e64 s1, v26, v22
	v_and_or_b32 v15, 0x8000, v8, v7
	v_lshrrev_b32_e32 v8, 2, v18
	v_lshl_or_b32 v18, v20, 12, v1
	s_wait_alu 0xf1ff
	v_cndmask_b32_e64 v7, 0, 1, s1
	v_cmp_eq_u32_e64 s1, 3, v24
	v_and_or_b32 v5, 0x1ff, v6, v5
	v_lshrrev_b32_e32 v22, 8, v6
	v_bfe_u32 v24, v6, 20, 11
	v_or_b32_e32 v7, v19, v7
	s_or_b32 s0, s1, s0
	v_lshl_or_b32 v15, v15, 16, v13
	s_wait_alu 0xfffe
	v_add_co_ci_u32_e64 v19, s0, 0, v8, s0
	v_cmp_ne_u32_e64 s0, 0, v11
	v_lshrrev_b32_e32 v6, 16, v6
	s_wait_alu 0xf1ff
	s_delay_alu instid0(VALU_DEP_2) | instskip(SKIP_1) | instid1(VALU_DEP_2)
	v_cndmask_b32_e64 v11, 0, 1, s0
	v_cmp_gt_i32_e64 s0, 1, v20
	v_lshl_or_b32 v11, v11, 9, 0x7c00
	s_wait_alu 0xf1ff
	s_delay_alu instid0(VALU_DEP_2) | instskip(SKIP_4) | instid1(VALU_DEP_3)
	v_cndmask_b32_e64 v18, v18, v7, s0
	v_cmp_gt_i32_e64 s0, 31, v25
	v_mul_f64_e32 v[7:8], s[10:11], v[9:10]
	v_mul_f16_e32 v10, v41, v21
	s_wait_alu 0xf1ff
	v_cndmask_b32_e64 v9, 0x7c00, v19, s0
	v_cmp_ne_u32_e64 s0, 0, v5
	v_and_b32_e32 v19, 7, v18
	v_fmac_f16_e32 v10, v40, v14
	v_lshrrev_b32_e32 v18, 2, v18
	s_wait_alu 0xf1ff
	v_cndmask_b32_e64 v5, 0, 1, s0
	v_cmp_eq_u32_e64 s0, 0x40f, v25
	v_cmp_eq_u32_e64 s1, 3, v19
	s_delay_alu instid0(VALU_DEP_3) | instskip(SKIP_1) | instid1(VALU_DEP_3)
	v_and_or_b32 v5, 0xffe, v22, v5
	s_wait_alu 0xf1ff
	v_cndmask_b32_e64 v11, v9, v11, s0
	v_cvt_f32_f16_e32 v9, v10
	v_cmp_lt_i32_e64 s0, 5, v19
	v_sub_nc_u32_e32 v22, 0x3f1, v24
	v_or_b32_e32 v19, 0x1000, v5
	v_and_or_b32 v26, 0x8000, v12, v11
	v_cvt_f64_f32_e32 v[9:10], v9
	s_or_b32 s0, s1, s0
	v_med3_i32 v22, v22, 0, 13
	s_wait_alu 0xfffe
	v_add_co_ci_u32_e64 v18, s0, 0, v18, s0
	v_cmp_ne_u32_e64 s0, 0, v1
	v_mul_f16_e32 v11, v41, v14
	v_lshrrev_b32_e32 v25, v22, v19
	s_wait_alu 0xf1ff
	s_delay_alu instid0(VALU_DEP_3) | instskip(SKIP_1) | instid1(VALU_DEP_3)
	v_cndmask_b32_e64 v1, 0, 1, s0
	v_cmp_gt_i32_e64 s0, 31, v20
	v_lshlrev_b32_e32 v12, v22, v25
	s_delay_alu instid0(VALU_DEP_3) | instskip(SKIP_1) | instid1(VALU_DEP_3)
	v_lshl_or_b32 v1, v1, 9, 0x7c00
	s_wait_alu 0xf1ff
	v_cndmask_b32_e64 v18, 0x7c00, v18, s0
	v_cmp_eq_u32_e64 s0, 0x40f, v20
	v_add_nc_u32_e32 v20, 0xfffffc10, v24
	s_wait_alu 0xf1ff
	s_delay_alu instid0(VALU_DEP_2)
	v_cndmask_b32_e64 v14, v18, v1, s0
	v_fma_f16 v1, v40, v21, -v11
	v_lshrrev_b32_e32 v18, 16, v2
	v_and_or_b32 v2, 0x1ff, v8, v7
	v_cmp_ne_u32_e64 s0, v12, v19
	v_lshrrev_b32_e32 v12, 8, v8
	v_cvt_f32_f16_e32 v1, v1
	v_bfe_u32 v19, v8, 20, 11
	v_lshl_or_b32 v21, v20, 12, v5
	s_wait_alu 0xf1ff
	v_cndmask_b32_e64 v7, 0, 1, s0
	v_cmp_ne_u32_e64 s0, 0, v2
	v_cvt_f64_f32_e32 v[1:2], v1
	v_and_or_b32 v13, 0x8000, v18, v14
	v_and_b32_e32 v14, 0xffff, v26
	v_or_b32_e32 v7, v25, v7
	s_wait_alu 0xf1ff
	v_cndmask_b32_e64 v11, 0, 1, s0
	v_cmp_gt_i32_e64 s0, 1, v20
	v_mul_f64_e32 v[9:10], s[10:11], v[9:10]
	v_lshl_or_b32 v25, v13, 16, v14
	s_delay_alu instid0(VALU_DEP_4)
	v_and_or_b32 v22, 0xffe, v12, v11
	ds_load_2addr_b32 v[11:12], v23 offset0:108 offset1:196
	v_sub_nc_u32_e32 v23, 0x3f1, v19
	s_wait_alu 0xf1ff
	v_cndmask_b32_e64 v7, v21, v7, s0
	v_add_co_u32 v3, s0, v3, s8
	v_or_b32_e32 v21, 0x1000, v22
	v_med3_i32 v23, v23, 0, 13
	s_delay_alu instid0(VALU_DEP_4)
	v_and_b32_e32 v18, 7, v7
	s_wait_alu 0xf1ff
	v_add_co_ci_u32_e64 v4, s0, s9, v4, s0
	v_lshrrev_b32_e32 v7, 2, v7
	v_lshrrev_b32_e32 v24, v23, v21
	v_cmp_lt_i32_e64 s0, 5, v18
	v_cmp_eq_u32_e64 s1, 3, v18
	s_delay_alu instid0(VALU_DEP_3) | instskip(NEXT) | instid1(VALU_DEP_2)
	v_lshlrev_b32_e32 v13, v23, v24
	s_or_b32 s0, s1, s0
	s_wait_dscnt 0x0
	v_lshrrev_b32_e32 v23, 16, v11
	s_delay_alu instid0(VALU_DEP_2)
	v_cmp_ne_u32_e64 s2, v13, v21
	s_wait_alu 0xfffe
	v_add_co_ci_u32_e64 v7, s0, 0, v7, s0
	v_add_nc_u32_e32 v21, 0xfffffc10, v19
	v_mul_f16_e32 v14, v39, v23
	s_wait_alu 0xf1ff
	v_cndmask_b32_e64 v13, 0, 1, s2
	v_cmp_ne_u32_e64 s0, 0, v5
	v_mul_f64_e32 v[1:2], s[10:11], v[1:2]
	v_lshl_or_b32 v18, v21, 12, v22
	v_fmac_f16_e32 v14, v38, v11
	v_or_b32_e32 v13, v24, v13
	s_wait_alu 0xf1ff
	v_cndmask_b32_e64 v5, 0, 1, s0
	v_cmp_gt_i32_e64 s0, 1, v21
	v_and_or_b32 v9, 0x1ff, v10, v9
	s_delay_alu instid0(VALU_DEP_3) | instskip(SKIP_1) | instid1(VALU_DEP_3)
	v_lshl_or_b32 v5, v5, 9, 0x7c00
	s_wait_alu 0xf1ff
	v_cndmask_b32_e64 v24, v18, v13, s0
	v_cvt_f32_f16_e32 v13, v14
	v_cmp_gt_i32_e64 s0, 31, v20
	v_cmp_ne_u32_e64 s1, 0, v9
	v_lshrrev_b32_e32 v9, 8, v10
	v_and_b32_e32 v26, 7, v24
	v_cvt_f64_f32_e32 v[13:14], v13
	s_wait_alu 0xf1ff
	v_cndmask_b32_e64 v7, 0x7c00, v7, s0
	v_add_co_u32 v18, s0, v3, s12
	s_wait_alu 0xf1ff
	v_add_co_ci_u32_e64 v19, s0, s13, v4, s0
	v_cmp_eq_u32_e64 s0, 0x40f, v20
	v_lshrrev_b32_e32 v24, 2, v24
	v_bfe_u32 v20, v10, 20, 11
	s_clause 0x1
	global_store_b32 v[3:4], v15, off
	global_store_b32 v[18:19], v25, off
	v_lshrrev_b32_e32 v10, 16, v10
	s_wait_alu 0xf1ff
	v_cndmask_b32_e64 v5, v7, v5, s0
	v_cmp_lt_i32_e64 s0, 5, v26
	v_cndmask_b32_e64 v7, 0, 1, s1
	v_cmp_eq_u32_e64 s1, 3, v26
	s_delay_alu instid0(VALU_DEP_4) | instskip(NEXT) | instid1(VALU_DEP_3)
	v_and_or_b32 v27, 0x8000, v6, v5
	v_and_or_b32 v9, 0xffe, v9, v7
	s_delay_alu instid0(VALU_DEP_3)
	s_or_b32 s0, s1, s0
	v_sub_nc_u32_e32 v7, 0x3f1, v20
	s_wait_alu 0xfffe
	v_add_co_ci_u32_e64 v24, s0, 0, v24, s0
	v_cmp_ne_u32_e64 s0, 0, v22
	v_or_b32_e32 v26, 0x1000, v9
	v_med3_i32 v7, v7, 0, 13
	v_and_or_b32 v1, 0x1ff, v2, v1
	v_add_nc_u32_e32 v20, 0xfffffc10, v20
	s_wait_alu 0xf1ff
	v_cndmask_b32_e64 v22, 0, 1, s0
	v_cmp_gt_i32_e64 s0, 31, v21
	v_lshrrev_b32_e32 v28, v7, v26
	v_cmp_eq_u32_e64 s2, 0x40f, v20
	s_delay_alu instid0(VALU_DEP_4)
	v_lshl_or_b32 v22, v22, 9, 0x7c00
	s_wait_alu 0xf1ff
	v_cndmask_b32_e64 v24, 0x7c00, v24, s0
	v_cmp_eq_u32_e64 s0, 0x40f, v21
	v_lshlrev_b32_e32 v7, v7, v28
	v_mul_f64_e32 v[5:6], s[10:11], v[13:14]
	v_lshl_or_b32 v14, v20, 12, v9
	s_wait_alu 0xf1ff
	v_cndmask_b32_e64 v21, v24, v22, s0
	v_cmp_ne_u32_e64 s0, 0, v1
	v_lshrrev_b32_e32 v22, 16, v8
	v_mul_f16_e32 v8, v39, v11
	v_lshrrev_b32_e32 v11, 8, v2
	v_bfe_u32 v24, v2, 20, 11
	s_wait_alu 0xf1ff
	v_cndmask_b32_e64 v1, 0, 1, s0
	v_cmp_ne_u32_e64 s0, v7, v26
	v_fma_f16 v8, v38, v23, -v8
	v_and_or_b32 v21, 0x8000, v22, v21
	v_and_b32_e32 v22, 0xffff, v27
	v_and_or_b32 v1, 0xffe, v11, v1
	s_wait_alu 0xf1ff
	v_cndmask_b32_e64 v7, 0, 1, s0
	v_sub_nc_u32_e32 v11, 0x3f1, v24
	v_cvt_f32_f16_e32 v8, v8
	v_cmp_gt_i32_e64 s0, 1, v20
	v_or_b32_e32 v23, 0x1000, v1
	v_or_b32_e32 v13, v28, v7
	v_med3_i32 v11, v11, 0, 13
	v_cvt_f64_f32_e32 v[7:8], v8
	v_lshl_or_b32 v15, v21, 16, v22
	v_lshrrev_b32_e32 v2, 16, v2
	s_wait_alu 0xf1ff
	v_cndmask_b32_e64 v13, v14, v13, s0
	v_lshrrev_b32_e32 v14, v11, v23
	v_add_co_u32 v3, s0, v18, s8
	s_wait_alu 0xf1ff
	v_add_co_ci_u32_e64 v4, s0, s9, v19, s0
	s_delay_alu instid0(VALU_DEP_3)
	v_lshlrev_b32_e32 v11, v11, v14
	v_and_b32_e32 v21, 7, v13
	v_lshrrev_b32_e32 v18, 16, v0
	v_lshrrev_b32_e32 v13, 2, v13
	v_add_nc_u32_e32 v19, 0xfffffc10, v24
	v_cmp_ne_u32_e64 s1, v11, v23
	v_cmp_lt_i32_e64 s0, 5, v21
	v_mul_f16_e32 v22, v37, v18
	v_and_or_b32 v5, 0x1ff, v6, v5
	v_bfe_u32 v23, v6, 20, 11
	s_wait_alu 0xf1ff
	v_cndmask_b32_e64 v11, 0, 1, s1
	v_cmp_eq_u32_e64 s1, 3, v21
	v_fmac_f16_e32 v22, v36, v0
	s_delay_alu instid0(VALU_DEP_3) | instskip(NEXT) | instid1(VALU_DEP_3)
	v_or_b32_e32 v11, v14, v11
	s_or_b32 s0, s1, s0
	v_lshl_or_b32 v14, v19, 12, v1
	s_wait_alu 0xfffe
	v_add_co_ci_u32_e64 v21, s0, 0, v13, s0
	v_cmp_gt_i32_e64 s0, 1, v19
	v_cvt_f32_f16_e32 v13, v22
	v_lshrrev_b32_e32 v22, 8, v6
	s_wait_alu 0xf1ff
	s_delay_alu instid0(VALU_DEP_3) | instskip(SKIP_3) | instid1(VALU_DEP_4)
	v_cndmask_b32_e64 v11, v14, v11, s0
	v_cmp_ne_u32_e64 s0, 0, v5
	v_cvt_f64_f32_e32 v[13:14], v13
	v_mul_f64_e32 v[7:8], s[10:11], v[7:8]
	v_and_b32_e32 v24, 7, v11
	s_wait_alu 0xf1ff
	v_cndmask_b32_e64 v5, 0, 1, s0
	v_cmp_ne_u32_e64 s0, 0, v9
	v_lshrrev_b32_e32 v11, 2, v11
	v_cmp_eq_u32_e64 s1, 3, v24
	s_delay_alu instid0(VALU_DEP_4)
	v_and_or_b32 v5, 0xffe, v22, v5
	s_wait_alu 0xf1ff
	v_cndmask_b32_e64 v9, 0, 1, s0
	v_cmp_gt_i32_e64 s0, 31, v20
	v_sub_nc_u32_e32 v22, 0x3f1, v23
	v_add_nc_u32_e32 v23, 0xfffffc10, v23
	v_or_b32_e32 v25, 0x1000, v5
	v_lshl_or_b32 v9, v9, 9, 0x7c00
	s_wait_alu 0xf1ff
	v_cndmask_b32_e64 v21, 0x7c00, v21, s0
	v_cmp_lt_i32_e64 s0, 5, v24
	v_med3_i32 v22, v22, 0, 13
	s_delay_alu instid0(VALU_DEP_3) | instskip(NEXT) | instid1(VALU_DEP_3)
	v_cndmask_b32_e64 v9, v21, v9, s2
	s_or_b32 s0, s1, s0
	s_delay_alu instid0(VALU_DEP_2) | instskip(SKIP_3) | instid1(VALU_DEP_3)
	v_lshrrev_b32_e32 v20, v22, v25
	s_wait_alu 0xfffe
	v_add_co_ci_u32_e64 v11, s0, 0, v11, s0
	v_cmp_ne_u32_e64 s0, 0, v1
	v_lshlrev_b32_e32 v21, v22, v20
	v_and_or_b32 v22, 0x8000, v10, v9
	s_wait_alu 0xf1ff
	s_delay_alu instid0(VALU_DEP_3) | instskip(SKIP_1) | instid1(VALU_DEP_2)
	v_cndmask_b32_e64 v1, 0, 1, s0
	v_cmp_gt_i32_e64 s0, 31, v19
	v_lshl_or_b32 v1, v1, 9, 0x7c00
	s_wait_alu 0xf1ff
	s_delay_alu instid0(VALU_DEP_2) | instskip(SKIP_3) | instid1(VALU_DEP_2)
	v_cndmask_b32_e64 v11, 0x7c00, v11, s0
	v_cmp_ne_u32_e64 s0, v21, v25
	v_and_or_b32 v7, 0x1ff, v8, v7
	s_wait_alu 0xf1ff
	v_cndmask_b32_e64 v21, 0, 1, s0
	v_cmp_eq_u32_e64 s0, 0x40f, v19
	v_lshrrev_b32_e32 v19, 16, v12
	s_delay_alu instid0(VALU_DEP_3) | instskip(SKIP_1) | instid1(VALU_DEP_3)
	v_or_b32_e32 v10, v20, v21
	s_wait_alu 0xf1ff
	v_cndmask_b32_e64 v9, v11, v1, s0
	v_mul_f16_e32 v11, v37, v0
	v_mul_f64_e32 v[0:1], s[10:11], v[13:14]
	v_lshl_or_b32 v13, v23, 12, v5
	v_cmp_gt_i32_e64 s0, 1, v23
	v_and_or_b32 v2, 0x8000, v2, v9
	v_fma_f16 v11, v36, v18, -v11
	v_bfe_u32 v18, v8, 20, 11
	v_and_b32_e32 v20, 0xffff, v22
	s_wait_alu 0xf1ff
	v_cndmask_b32_e64 v13, v13, v10, s0
	v_cmp_ne_u32_e64 s0, 0, v7
	v_cvt_f32_f16_e32 v10, v11
	v_lshrrev_b32_e32 v11, 8, v8
	v_mul_f16_e32 v22, v35, v19
	v_and_b32_e32 v14, 7, v13
	s_wait_alu 0xf1ff
	v_cndmask_b32_e64 v7, 0, 1, s0
	v_cvt_f64_f32_e32 v[9:10], v10
	v_lshrrev_b32_e32 v13, 2, v13
	v_lshl_or_b32 v2, v2, 16, v20
	v_cmp_lt_i32_e64 s0, 5, v14
	v_and_or_b32 v7, 0xffe, v11, v7
	v_sub_nc_u32_e32 v11, 0x3f1, v18
	v_cmp_eq_u32_e64 s1, 3, v14
	v_fmac_f16_e32 v22, v34, v12
	v_add_nc_u32_e32 v18, 0xfffffc10, v18
	v_or_b32_e32 v21, 0x1000, v7
	v_med3_i32 v11, v11, 0, 13
	s_or_b32 s0, s1, s0
	v_cvt_f32_f16_e32 v14, v22
	s_wait_alu 0xfffe
	v_add_co_ci_u32_e64 v13, s0, 0, v13, s0
	v_lshrrev_b32_e32 v20, v11, v21
	v_cmp_ne_u32_e64 s0, 0, v5
	v_mul_f16_e32 v12, v35, v12
	s_delay_alu instid0(VALU_DEP_3) | instskip(SKIP_1) | instid1(VALU_DEP_3)
	v_lshlrev_b32_e32 v11, v11, v20
	s_wait_alu 0xf1ff
	v_cndmask_b32_e64 v5, 0, 1, s0
	v_cmp_gt_i32_e64 s0, 31, v23
	v_fma_f16 v12, v34, v19, -v12
	v_and_or_b32 v0, 0x1ff, v1, v0
	v_lshl_or_b32 v19, v18, 12, v7
	v_lshl_or_b32 v5, v5, 9, 0x7c00
	s_wait_alu 0xf1ff
	v_cndmask_b32_e64 v22, 0x7c00, v13, s0
	v_cvt_f64_f32_e32 v[13:14], v14
	v_cmp_ne_u32_e64 s0, v11, v21
	v_lshrrev_b32_e32 v21, 8, v1
	v_cvt_f32_f16_e32 v12, v12
	s_wait_alu 0xf1ff
	s_delay_alu instid0(VALU_DEP_3) | instskip(SKIP_2) | instid1(VALU_DEP_3)
	v_cndmask_b32_e64 v11, 0, 1, s0
	v_cmp_ne_u32_e64 s0, 0, v0
	v_mul_f64_e32 v[9:10], s[10:11], v[9:10]
	v_or_b32_e32 v11, v20, v11
	s_wait_alu 0xf1ff
	s_delay_alu instid0(VALU_DEP_3) | instskip(SKIP_3) | instid1(VALU_DEP_4)
	v_cndmask_b32_e64 v0, 0, 1, s0
	v_bfe_u32 v20, v1, 20, 11
	v_cmp_gt_i32_e64 s0, 1, v18
	v_lshrrev_b32_e32 v1, 16, v1
	v_and_or_b32 v0, 0xffe, v21, v0
	s_delay_alu instid0(VALU_DEP_4)
	v_sub_nc_u32_e32 v21, 0x3f1, v20
	s_wait_alu 0xf1ff
	v_cndmask_b32_e64 v19, v19, v11, s0
	v_cmp_eq_u32_e64 s0, 0x40f, v23
	v_cvt_f64_f32_e32 v[11:12], v12
	v_or_b32_e32 v24, 0x1000, v0
	v_med3_i32 v21, v21, 0, 13
	v_and_b32_e32 v25, 7, v19
	s_wait_alu 0xf1ff
	v_cndmask_b32_e64 v22, v22, v5, s0
	v_add_co_u32 v5, s0, v3, s12
	v_lshrrev_b32_e32 v26, v21, v24
	v_lshrrev_b32_e32 v23, 16, v6
	s_wait_alu 0xf1ff
	v_add_co_ci_u32_e64 v6, s0, s13, v4, s0
	v_cmp_lt_i32_e64 s0, 5, v25
	v_cmp_eq_u32_e64 s1, 3, v25
	v_lshrrev_b32_e32 v19, 2, v19
	v_lshlrev_b32_e32 v21, v21, v26
	v_add_nc_u32_e32 v20, 0xfffffc10, v20
	v_and_or_b32 v22, 0x8000, v23, v22
	s_or_b32 s0, s1, s0
	v_mul_f64_e32 v[13:14], s[10:11], v[13:14]
	s_wait_alu 0xfffe
	v_add_co_ci_u32_e64 v19, s0, 0, v19, s0
	v_cmp_ne_u32_e64 s2, v21, v24
	v_cmp_ne_u32_e64 s0, 0, v7
	v_lshl_or_b32 v23, v20, 12, v0
	s_wait_alu 0xf1ff
	s_delay_alu instid0(VALU_DEP_3) | instskip(NEXT) | instid1(VALU_DEP_3)
	v_cndmask_b32_e64 v21, 0, 1, s2
	v_cndmask_b32_e64 v7, 0, 1, s0
	v_cmp_gt_i32_e64 s0, 31, v18
	v_and_or_b32 v9, 0x1ff, v10, v9
	v_lshrrev_b32_e32 v24, 8, v10
	v_or_b32_e32 v21, v26, v21
	v_lshl_or_b32 v7, v7, 9, 0x7c00
	s_wait_alu 0xf1ff
	v_cndmask_b32_e64 v19, 0x7c00, v19, s0
	v_cmp_gt_i32_e64 s0, 1, v20
	s_wait_alu 0xf1ff
	s_delay_alu instid0(VALU_DEP_1) | instskip(SKIP_1) | instid1(VALU_DEP_2)
	v_cndmask_b32_e64 v21, v23, v21, s0
	v_cmp_eq_u32_e64 s0, 0x40f, v18
	v_and_b32_e32 v23, 7, v21
	s_wait_alu 0xf1ff
	s_delay_alu instid0(VALU_DEP_2)
	v_cndmask_b32_e64 v18, v19, v7, s0
	v_lshrrev_b32_e32 v19, 16, v8
	v_cmp_ne_u32_e64 s0, 0, v9
	v_mul_f64_e32 v[7:8], s[10:11], v[11:12]
	v_bfe_u32 v11, v10, 20, 11
	v_cmp_eq_u32_e64 s1, 3, v23
	v_and_or_b32 v12, 0x8000, v19, v18
	v_and_b32_e32 v18, 0xffff, v22
	s_wait_alu 0xf1ff
	v_cndmask_b32_e64 v9, 0, 1, s0
	v_cmp_lt_i32_e64 s0, 5, v23
	v_sub_nc_u32_e32 v19, 0x3f1, v11
	v_and_or_b32 v13, 0x1ff, v14, v13
	v_lshl_or_b32 v12, v12, 16, v18
	v_lshrrev_b32_e32 v18, 2, v21
	v_and_or_b32 v9, 0xffe, v24, v9
	s_or_b32 s0, s1, s0
	v_med3_i32 v19, v19, 0, 13
	v_lshrrev_b32_e32 v23, 8, v14
	s_wait_alu 0xfffe
	v_add_co_ci_u32_e64 v18, s0, 0, v18, s0
	v_or_b32_e32 v21, 0x1000, v9
	v_cmp_ne_u32_e64 s0, 0, v0
	v_bfe_u32 v24, v14, 20, 11
	v_add_nc_u32_e32 v11, 0xfffffc10, v11
	v_lshrrev_b32_e32 v10, 16, v10
	v_lshrrev_b32_e32 v22, v19, v21
	s_wait_alu 0xf1ff
	v_cndmask_b32_e64 v0, 0, 1, s0
	v_cmp_gt_i32_e64 s0, 31, v20
	s_delay_alu instid0(VALU_DEP_3) | instskip(NEXT) | instid1(VALU_DEP_3)
	v_lshlrev_b32_e32 v19, v19, v22
	v_lshl_or_b32 v0, v0, 9, 0x7c00
	s_wait_alu 0xf1ff
	s_delay_alu instid0(VALU_DEP_3) | instskip(SKIP_2) | instid1(VALU_DEP_1)
	v_cndmask_b32_e64 v18, 0x7c00, v18, s0
	v_cmp_ne_u32_e64 s0, 0, v13
	s_wait_alu 0xf1ff
	v_cndmask_b32_e64 v13, 0, 1, s0
	v_cmp_ne_u32_e64 s0, v19, v21
	v_sub_nc_u32_e32 v21, 0x3f1, v24
	v_and_or_b32 v7, 0x1ff, v8, v7
	s_delay_alu instid0(VALU_DEP_4)
	v_and_or_b32 v13, 0xffe, v23, v13
	s_wait_alu 0xf1ff
	v_cndmask_b32_e64 v19, 0, 1, s0
	v_cmp_eq_u32_e64 s0, 0x40f, v20
	v_med3_i32 v21, v21, 0, 13
	v_bfe_u32 v23, v8, 20, 11
	v_or_b32_e32 v20, 0x1000, v13
	s_wait_alu 0xf1ff
	v_cndmask_b32_e64 v0, v18, v0, s0
	v_or_b32_e32 v18, v22, v19
	v_lshl_or_b32 v19, v11, 12, v9
	v_cmp_gt_i32_e64 s0, 1, v11
	v_lshrrev_b32_e32 v22, 8, v8
	v_and_or_b32 v0, 0x8000, v1, v0
	s_wait_alu 0xf1ff
	s_delay_alu instid0(VALU_DEP_3) | instskip(SKIP_3) | instid1(VALU_DEP_4)
	v_cndmask_b32_e64 v18, v19, v18, s0
	v_lshrrev_b32_e32 v19, v21, v20
	v_cmp_ne_u32_e64 s0, 0, v7
	v_and_b32_e32 v0, 0xffff, v0
	v_and_b32_e32 v25, 7, v18
	s_delay_alu instid0(VALU_DEP_4)
	v_lshlrev_b32_e32 v21, v21, v19
	s_wait_alu 0xf1ff
	v_cndmask_b32_e64 v7, 0, 1, s0
	v_lshrrev_b32_e32 v18, 2, v18
	v_cmp_lt_i32_e64 s0, 5, v25
	v_cmp_ne_u32_e64 s1, v21, v20
	s_delay_alu instid0(VALU_DEP_4)
	v_and_or_b32 v1, 0xffe, v22, v7
	v_sub_nc_u32_e32 v7, 0x3f1, v23
	v_add_nc_u32_e32 v22, 0xfffffc10, v24
	s_wait_alu 0xf1ff
	v_cndmask_b32_e64 v20, 0, 1, s1
	v_cmp_eq_u32_e64 s1, 3, v25
	v_or_b32_e32 v21, 0x1000, v1
	v_med3_i32 v7, v7, 0, 13
	v_lshl_or_b32 v24, v22, 12, v13
	v_or_b32_e32 v19, v19, v20
	s_or_b32 s0, s1, s0
	s_wait_alu 0xfffe
	v_add_co_ci_u32_e64 v18, s0, 0, v18, s0
	v_lshrrev_b32_e32 v20, v7, v21
	v_cmp_gt_i32_e64 s0, 1, v22
	s_delay_alu instid0(VALU_DEP_2) | instskip(SKIP_1) | instid1(VALU_DEP_2)
	v_lshlrev_b32_e32 v7, v7, v20
	s_wait_alu 0xf1ff
	v_cndmask_b32_e64 v19, v24, v19, s0
	v_cmp_ne_u32_e64 s0, 0, v9
	s_wait_alu 0xf1ff
	s_delay_alu instid0(VALU_DEP_1) | instskip(SKIP_3) | instid1(VALU_DEP_4)
	v_cndmask_b32_e64 v9, 0, 1, s0
	v_cmp_ne_u32_e64 s0, v7, v21
	v_add_nc_u32_e32 v21, 0xfffffc10, v23
	v_and_b32_e32 v23, 7, v19
	v_lshl_or_b32 v9, v9, 9, 0x7c00
	s_wait_alu 0xf1ff
	v_cndmask_b32_e64 v7, 0, 1, s0
	v_cmp_gt_i32_e64 s0, 31, v11
	v_cmp_gt_i32_e64 s2, 1, v21
	v_cmp_eq_u32_e64 s1, 3, v23
	s_delay_alu instid0(VALU_DEP_4) | instskip(SKIP_4) | instid1(VALU_DEP_3)
	v_or_b32_e32 v7, v20, v7
	v_lshl_or_b32 v20, v21, 12, v1
	s_wait_alu 0xf1ff
	v_cndmask_b32_e64 v18, 0x7c00, v18, s0
	v_cmp_lt_i32_e64 s0, 5, v23
	v_cndmask_b32_e64 v7, v20, v7, s2
	v_cmp_eq_u32_e64 s2, 0x40f, v11
	v_lshrrev_b32_e32 v11, 2, v19
	s_delay_alu instid0(VALU_DEP_4) | instskip(NEXT) | instid1(VALU_DEP_2)
	s_or_b32 s0, s1, s0
	v_cndmask_b32_e64 v9, v18, v9, s2
	s_wait_alu 0xfffe
	s_delay_alu instid0(VALU_DEP_2)
	v_add_co_ci_u32_e64 v11, s0, 0, v11, s0
	v_and_b32_e32 v18, 7, v7
	v_cmp_ne_u32_e64 s0, 0, v13
	v_lshrrev_b32_e32 v7, 2, v7
	v_cmp_gt_i32_e64 s2, 31, v22
	v_and_or_b32 v9, 0x8000, v10, v9
	v_cmp_eq_u32_e64 s1, 3, v18
	s_wait_alu 0xf1ff
	v_cndmask_b32_e64 v13, 0, 1, s0
	v_cmp_lt_i32_e64 s0, 5, v18
	v_cndmask_b32_e64 v11, 0x7c00, v11, s2
	s_delay_alu instid0(VALU_DEP_3) | instskip(NEXT) | instid1(VALU_DEP_3)
	v_lshl_or_b32 v13, v13, 9, 0x7c00
	s_or_b32 s0, s1, s0
	s_wait_alu 0xfffe
	v_add_co_ci_u32_e64 v7, s0, 0, v7, s0
	v_cmp_ne_u32_e64 s0, 0, v1
	s_wait_alu 0xf1ff
	s_delay_alu instid0(VALU_DEP_1) | instskip(SKIP_1) | instid1(VALU_DEP_2)
	v_cndmask_b32_e64 v1, 0, 1, s0
	v_cmp_eq_u32_e64 s0, 0x40f, v22
	v_lshl_or_b32 v1, v1, 9, 0x7c00
	s_wait_alu 0xf1ff
	s_delay_alu instid0(VALU_DEP_2) | instskip(SKIP_3) | instid1(VALU_DEP_2)
	v_cndmask_b32_e64 v11, v11, v13, s0
	v_cmp_gt_i32_e64 s0, 31, v21
	v_lshrrev_b32_e32 v13, 16, v14
	s_wait_alu 0xf1ff
	v_cndmask_b32_e64 v7, 0x7c00, v7, s0
	v_cmp_eq_u32_e64 s0, 0x40f, v21
	s_delay_alu instid0(VALU_DEP_3)
	v_and_or_b32 v10, 0x8000, v13, v11
	v_lshrrev_b32_e32 v11, 16, v8
	v_lshl_or_b32 v13, v9, 16, v0
	s_wait_alu 0xf1ff
	v_cndmask_b32_e64 v1, v7, v1, s0
	v_add_co_u32 v7, s0, v5, s8
	s_wait_alu 0xf1ff
	v_add_co_ci_u32_e64 v8, s0, s9, v6, s0
	s_delay_alu instid0(VALU_DEP_3) | instskip(SKIP_4) | instid1(VALU_DEP_3)
	v_and_or_b32 v0, 0x8000, v11, v1
	v_and_b32_e32 v1, 0xffff, v10
	v_add_co_u32 v9, s0, v7, s12
	s_wait_alu 0xf1ff
	v_add_co_ci_u32_e64 v10, s0, s13, v8, s0
	v_lshl_or_b32 v11, v0, 16, v1
	s_delay_alu instid0(VALU_DEP_3) | instskip(SKIP_1) | instid1(VALU_DEP_3)
	v_add_co_u32 v0, s0, v9, s8
	s_wait_alu 0xf1ff
	v_add_co_ci_u32_e64 v1, s0, s9, v10, s0
	global_store_b32 v[3:4], v15, off
	global_store_b32 v[5:6], v2, off
	global_store_b32 v[7:8], v12, off
	global_store_b32 v[9:10], v13, off
	global_store_b32 v[0:1], v11, off
	s_and_b32 exec_lo, exec_lo, vcc_lo
	s_cbranch_execz .LBB0_31
; %bb.30:
	s_clause 0x1
	global_load_b32 v2, v[16:17], off offset:1760
	global_load_b32 v4, v[16:17], off offset:3696
	ds_load_b32 v3, v33 offset:1760
	ds_load_b32 v5, v33 offset:3696
	s_wait_dscnt 0x1
	v_lshrrev_b32_e32 v6, 16, v3
	s_wait_dscnt 0x0
	v_lshrrev_b32_e32 v9, 16, v5
	s_wait_loadcnt 0x1
	v_lshrrev_b32_e32 v7, 16, v2
	s_wait_loadcnt 0x0
	v_lshrrev_b32_e32 v10, 16, v4
	s_delay_alu instid0(VALU_DEP_2) | instskip(SKIP_1) | instid1(VALU_DEP_3)
	v_mul_f16_e32 v8, v6, v7
	v_mul_f16_e32 v7, v3, v7
	;; [unrolled: 1-line block ×3, first 2 shown]
	s_delay_alu instid0(VALU_DEP_3) | instskip(NEXT) | instid1(VALU_DEP_3)
	v_fmac_f16_e32 v8, v3, v2
	v_fma_f16 v2, v2, v6, -v7
	v_mul_f16_e32 v6, v5, v10
	s_delay_alu instid0(VALU_DEP_4) | instskip(NEXT) | instid1(VALU_DEP_4)
	v_fmac_f16_e32 v11, v5, v4
	v_cvt_f32_f16_e32 v3, v8
	s_delay_alu instid0(VALU_DEP_4) | instskip(NEXT) | instid1(VALU_DEP_4)
	v_cvt_f32_f16_e32 v5, v2
	v_fma_f16 v6, v4, v9, -v6
	s_delay_alu instid0(VALU_DEP_4) | instskip(NEXT) | instid1(VALU_DEP_4)
	v_cvt_f32_f16_e32 v7, v11
	v_cvt_f64_f32_e32 v[2:3], v3
	s_delay_alu instid0(VALU_DEP_4) | instskip(NEXT) | instid1(VALU_DEP_4)
	v_cvt_f64_f32_e32 v[4:5], v5
	v_cvt_f32_f16_e32 v8, v6
	s_delay_alu instid0(VALU_DEP_4) | instskip(NEXT) | instid1(VALU_DEP_2)
	v_cvt_f64_f32_e32 v[6:7], v7
	v_cvt_f64_f32_e32 v[8:9], v8
	v_mul_f64_e32 v[2:3], s[10:11], v[2:3]
	v_mul_f64_e32 v[4:5], s[10:11], v[4:5]
	s_delay_alu instid0(VALU_DEP_4) | instskip(NEXT) | instid1(VALU_DEP_4)
	v_mul_f64_e32 v[6:7], s[10:11], v[6:7]
	v_mul_f64_e32 v[8:9], s[10:11], v[8:9]
	s_delay_alu instid0(VALU_DEP_4) | instskip(NEXT) | instid1(VALU_DEP_4)
	v_and_or_b32 v2, 0x1ff, v3, v2
	v_and_or_b32 v4, 0x1ff, v5, v4
	v_lshrrev_b32_e32 v10, 8, v3
	v_and_or_b32 v6, 0x1ff, v7, v6
	v_bfe_u32 v11, v3, 20, 11
	v_cmp_ne_u32_e32 vcc_lo, 0, v2
	v_lshrrev_b32_e32 v12, 8, v5
	v_and_or_b32 v8, 0x1ff, v9, v8
	v_bfe_u32 v13, v5, 20, 11
	v_lshrrev_b32_e32 v14, 8, v7
	s_wait_alu 0xfffd
	v_cndmask_b32_e64 v2, 0, 1, vcc_lo
	v_cmp_ne_u32_e32 vcc_lo, 0, v4
	v_bfe_u32 v15, v7, 20, 11
	v_bfe_u32 v17, v9, 20, 11
	v_sub_nc_u32_e32 v18, 0x3f1, v11
	v_and_or_b32 v2, 0xffe, v10, v2
	s_wait_alu 0xfffd
	v_cndmask_b32_e64 v4, 0, 1, vcc_lo
	v_cmp_ne_u32_e32 vcc_lo, 0, v6
	v_add_nc_u32_e32 v11, 0xfffffc10, v11
	v_sub_nc_u32_e32 v19, 0x3f1, v13
	v_lshrrev_b32_e32 v16, 8, v9
	v_and_or_b32 v4, 0xffe, v12, v4
	s_wait_alu 0xfffd
	v_cndmask_b32_e64 v6, 0, 1, vcc_lo
	v_cmp_ne_u32_e32 vcc_lo, 0, v8
	v_add_nc_u32_e32 v13, 0xfffffc10, v13
	v_sub_nc_u32_e32 v20, 0x3f1, v15
	v_sub_nc_u32_e32 v21, 0x3f1, v17
	v_med3_i32 v10, v18, 0, 13
	s_wait_alu 0xfffd
	v_cndmask_b32_e64 v8, 0, 1, vcc_lo
	v_cmp_ne_u32_e32 vcc_lo, 0, v2
	v_med3_i32 v12, v19, 0, 13
	v_and_or_b32 v6, 0xffe, v14, v6
	v_or_b32_e32 v18, 0x1000, v2
	v_lshl_or_b32 v19, v11, 12, v2
	s_wait_alu 0xfffd
	v_cndmask_b32_e64 v2, 0, 1, vcc_lo
	v_cmp_ne_u32_e32 vcc_lo, 0, v4
	v_add_nc_u32_e32 v15, 0xfffffc10, v15
	v_med3_i32 v14, v20, 0, 13
	v_and_or_b32 v8, 0xffe, v16, v8
	v_med3_i32 v16, v21, 0, 13
	v_or_b32_e32 v20, 0x1000, v4
	v_lshl_or_b32 v21, v13, 12, v4
	s_wait_alu 0xfffd
	v_cndmask_b32_e64 v4, 0, 1, vcc_lo
	v_cmp_ne_u32_e32 vcc_lo, 0, v6
	v_lshrrev_b32_e32 v26, v10, v18
	v_add_nc_u32_e32 v17, 0xfffffc10, v17
	v_or_b32_e32 v22, 0x1000, v6
	v_lshl_or_b32 v23, v15, 12, v6
	s_wait_alu 0xfffd
	v_cndmask_b32_e64 v6, 0, 1, vcc_lo
	v_cmp_ne_u32_e32 vcc_lo, 0, v8
	v_lshrrev_b32_e32 v27, v12, v20
	v_lshlrev_b32_e32 v10, v10, v26
	v_or_b32_e32 v24, 0x1000, v8
	v_lshl_or_b32 v25, v17, 12, v8
	s_wait_alu 0xfffd
	v_cndmask_b32_e64 v8, 0, 1, vcc_lo
	v_lshrrev_b32_e32 v28, v14, v22
	v_lshlrev_b32_e32 v12, v12, v27
	v_cmp_ne_u32_e32 vcc_lo, v10, v18
	v_lshrrev_b32_e32 v29, v16, v24
	v_lshl_or_b32 v2, v2, 9, 0x7c00
	v_lshlrev_b32_e32 v14, v14, v28
	v_lshl_or_b32 v6, v6, 9, 0x7c00
	s_wait_alu 0xfffd
	v_cndmask_b32_e64 v10, 0, 1, vcc_lo
	v_cmp_ne_u32_e32 vcc_lo, v12, v20
	v_lshlrev_b32_e32 v16, v16, v29
	v_lshl_or_b32 v4, v4, 9, 0x7c00
	v_lshrrev_b32_e32 v3, 16, v3
	v_or_b32_e32 v10, v26, v10
	s_wait_alu 0xfffd
	v_cndmask_b32_e64 v12, 0, 1, vcc_lo
	v_cmp_ne_u32_e32 vcc_lo, v14, v22
	v_lshrrev_b32_e32 v7, 16, v7
	v_lshl_or_b32 v8, v8, 9, 0x7c00
	v_lshrrev_b32_e32 v5, 16, v5
	v_or_b32_e32 v12, v27, v12
	s_wait_alu 0xfffd
	v_cndmask_b32_e64 v14, 0, 1, vcc_lo
	v_cmp_ne_u32_e32 vcc_lo, v16, v24
	v_lshrrev_b32_e32 v9, 16, v9
	s_delay_alu instid0(VALU_DEP_3) | instskip(SKIP_3) | instid1(VALU_DEP_2)
	v_or_b32_e32 v14, v28, v14
	s_wait_alu 0xfffd
	v_cndmask_b32_e64 v16, 0, 1, vcc_lo
	v_cmp_gt_i32_e32 vcc_lo, 1, v11
	v_or_b32_e32 v16, v29, v16
	s_wait_alu 0xfffd
	v_cndmask_b32_e32 v10, v19, v10, vcc_lo
	v_cmp_gt_i32_e32 vcc_lo, 1, v13
	s_delay_alu instid0(VALU_DEP_2)
	v_and_b32_e32 v18, 7, v10
	s_wait_alu 0xfffd
	v_cndmask_b32_e32 v12, v21, v12, vcc_lo
	v_cmp_gt_i32_e32 vcc_lo, 1, v15
	v_lshrrev_b32_e32 v10, 2, v10
	v_cmp_eq_u32_e64 s0, 3, v18
	s_wait_alu 0xfffd
	v_cndmask_b32_e32 v14, v23, v14, vcc_lo
	v_cmp_gt_i32_e32 vcc_lo, 1, v17
	s_delay_alu instid0(VALU_DEP_2)
	v_and_b32_e32 v20, 7, v14
	s_wait_alu 0xfffd
	v_cndmask_b32_e32 v16, v25, v16, vcc_lo
	v_cmp_lt_i32_e32 vcc_lo, 5, v18
	v_lshrrev_b32_e32 v14, 2, v14
	v_cmp_lt_i32_e64 s3, 5, v20
	v_cmp_eq_u32_e64 s4, 3, v20
	s_or_b32 vcc_lo, s0, vcc_lo
	s_wait_alu 0xfffe
	v_add_co_ci_u32_e32 v10, vcc_lo, 0, v10, vcc_lo
	v_and_b32_e32 v19, 7, v12
	v_lshrrev_b32_e32 v12, 2, v12
	s_delay_alu instid0(VALU_DEP_2) | instskip(SKIP_1) | instid1(VALU_DEP_1)
	v_cmp_lt_i32_e64 s1, 5, v19
	v_cmp_eq_u32_e64 s2, 3, v19
	s_or_b32 vcc_lo, s2, s1
	s_wait_alu 0xfffe
	v_add_co_ci_u32_e32 v12, vcc_lo, 0, v12, vcc_lo
	s_or_b32 vcc_lo, s4, s3
	s_wait_alu 0xfffe
	v_add_co_ci_u32_e32 v14, vcc_lo, 0, v14, vcc_lo
	v_and_b32_e32 v21, 7, v16
	v_lshrrev_b32_e32 v16, 2, v16
	s_delay_alu instid0(VALU_DEP_2) | instskip(SKIP_1) | instid1(VALU_DEP_1)
	v_cmp_lt_i32_e64 s5, 5, v21
	v_cmp_eq_u32_e64 s6, 3, v21
	s_or_b32 vcc_lo, s6, s5
	s_wait_alu 0xfffe
	v_add_co_ci_u32_e32 v16, vcc_lo, 0, v16, vcc_lo
	v_cmp_gt_i32_e32 vcc_lo, 31, v11
	s_wait_alu 0xfffd
	v_cndmask_b32_e32 v10, 0x7c00, v10, vcc_lo
	v_cmp_gt_i32_e32 vcc_lo, 31, v13
	s_wait_alu 0xfffd
	v_cndmask_b32_e32 v12, 0x7c00, v12, vcc_lo
	v_cmp_gt_i32_e32 vcc_lo, 31, v15
	s_wait_alu 0xfffd
	v_cndmask_b32_e32 v14, 0x7c00, v14, vcc_lo
	v_cmp_gt_i32_e32 vcc_lo, 31, v17
	s_wait_alu 0xfffd
	v_cndmask_b32_e32 v16, 0x7c00, v16, vcc_lo
	v_cmp_eq_u32_e32 vcc_lo, 0x40f, v11
	s_wait_alu 0xfffd
	v_cndmask_b32_e32 v2, v10, v2, vcc_lo
	v_cmp_eq_u32_e32 vcc_lo, 0x40f, v15
	s_delay_alu instid0(VALU_DEP_2) | instskip(SKIP_3) | instid1(VALU_DEP_2)
	v_and_or_b32 v2, 0x8000, v3, v2
	s_wait_alu 0xfffd
	v_cndmask_b32_e32 v6, v14, v6, vcc_lo
	v_cmp_eq_u32_e32 vcc_lo, 0x40f, v13
	v_and_or_b32 v3, 0x8000, v7, v6
	s_wait_alu 0xfffd
	v_cndmask_b32_e32 v4, v12, v4, vcc_lo
	v_cmp_eq_u32_e32 vcc_lo, 0x40f, v17
	v_and_b32_e32 v6, 0xffff, v2
	v_and_b32_e32 v7, 0xffff, v3
	s_delay_alu instid0(VALU_DEP_4)
	v_and_or_b32 v4, 0x8000, v5, v4
	s_wait_alu 0xfffd
	v_cndmask_b32_e32 v8, v16, v8, vcc_lo
	v_add_co_u32 v0, vcc_lo, v0, s12
	s_wait_alu 0xfffd
	v_add_co_ci_u32_e32 v1, vcc_lo, s13, v1, vcc_lo
	s_delay_alu instid0(VALU_DEP_3) | instskip(NEXT) | instid1(VALU_DEP_3)
	v_and_or_b32 v5, 0x8000, v9, v8
	v_add_co_u32 v2, vcc_lo, v0, s8
	v_lshl_or_b32 v4, v4, 16, v6
	s_wait_alu 0xfffd
	v_add_co_ci_u32_e32 v3, vcc_lo, s9, v1, vcc_lo
	v_lshl_or_b32 v5, v5, 16, v7
	global_store_b32 v[0:1], v4, off
	global_store_b32 v[2:3], v5, off
.LBB0_31:
	s_nop 0
	s_sendmsg sendmsg(MSG_DEALLOC_VGPRS)
	s_endpgm
	.section	.rodata,"a",@progbits
	.p2align	6, 0x0
	.amdhsa_kernel bluestein_single_fwd_len968_dim1_half_op_CI_CI
		.amdhsa_group_segment_fixed_size 7744
		.amdhsa_private_segment_fixed_size 0
		.amdhsa_kernarg_size 104
		.amdhsa_user_sgpr_count 2
		.amdhsa_user_sgpr_dispatch_ptr 0
		.amdhsa_user_sgpr_queue_ptr 0
		.amdhsa_user_sgpr_kernarg_segment_ptr 1
		.amdhsa_user_sgpr_dispatch_id 0
		.amdhsa_user_sgpr_private_segment_size 0
		.amdhsa_wavefront_size32 1
		.amdhsa_uses_dynamic_stack 0
		.amdhsa_enable_private_segment 0
		.amdhsa_system_sgpr_workgroup_id_x 1
		.amdhsa_system_sgpr_workgroup_id_y 0
		.amdhsa_system_sgpr_workgroup_id_z 0
		.amdhsa_system_sgpr_workgroup_info 0
		.amdhsa_system_vgpr_workitem_id 0
		.amdhsa_next_free_vgpr 216
		.amdhsa_next_free_sgpr 18
		.amdhsa_reserve_vcc 1
		.amdhsa_float_round_mode_32 0
		.amdhsa_float_round_mode_16_64 0
		.amdhsa_float_denorm_mode_32 3
		.amdhsa_float_denorm_mode_16_64 3
		.amdhsa_fp16_overflow 0
		.amdhsa_workgroup_processor_mode 1
		.amdhsa_memory_ordered 1
		.amdhsa_forward_progress 0
		.amdhsa_round_robin_scheduling 0
		.amdhsa_exception_fp_ieee_invalid_op 0
		.amdhsa_exception_fp_denorm_src 0
		.amdhsa_exception_fp_ieee_div_zero 0
		.amdhsa_exception_fp_ieee_overflow 0
		.amdhsa_exception_fp_ieee_underflow 0
		.amdhsa_exception_fp_ieee_inexact 0
		.amdhsa_exception_int_div_zero 0
	.end_amdhsa_kernel
	.text
.Lfunc_end0:
	.size	bluestein_single_fwd_len968_dim1_half_op_CI_CI, .Lfunc_end0-bluestein_single_fwd_len968_dim1_half_op_CI_CI
                                        ; -- End function
	.section	.AMDGPU.csdata,"",@progbits
; Kernel info:
; codeLenInByte = 26032
; NumSgprs: 20
; NumVgprs: 216
; ScratchSize: 0
; MemoryBound: 0
; FloatMode: 240
; IeeeMode: 1
; LDSByteSize: 7744 bytes/workgroup (compile time only)
; SGPRBlocks: 2
; VGPRBlocks: 26
; NumSGPRsForWavesPerEU: 20
; NumVGPRsForWavesPerEU: 216
; Occupancy: 7
; WaveLimiterHint : 1
; COMPUTE_PGM_RSRC2:SCRATCH_EN: 0
; COMPUTE_PGM_RSRC2:USER_SGPR: 2
; COMPUTE_PGM_RSRC2:TRAP_HANDLER: 0
; COMPUTE_PGM_RSRC2:TGID_X_EN: 1
; COMPUTE_PGM_RSRC2:TGID_Y_EN: 0
; COMPUTE_PGM_RSRC2:TGID_Z_EN: 0
; COMPUTE_PGM_RSRC2:TIDIG_COMP_CNT: 0
	.text
	.p2alignl 7, 3214868480
	.fill 96, 4, 3214868480
	.type	__hip_cuid_7556f72861e57f26,@object ; @__hip_cuid_7556f72861e57f26
	.section	.bss,"aw",@nobits
	.globl	__hip_cuid_7556f72861e57f26
__hip_cuid_7556f72861e57f26:
	.byte	0                               ; 0x0
	.size	__hip_cuid_7556f72861e57f26, 1

	.ident	"AMD clang version 19.0.0git (https://github.com/RadeonOpenCompute/llvm-project roc-6.4.0 25133 c7fe45cf4b819c5991fe208aaa96edf142730f1d)"
	.section	".note.GNU-stack","",@progbits
	.addrsig
	.addrsig_sym __hip_cuid_7556f72861e57f26
	.amdgpu_metadata
---
amdhsa.kernels:
  - .args:
      - .actual_access:  read_only
        .address_space:  global
        .offset:         0
        .size:           8
        .value_kind:     global_buffer
      - .actual_access:  read_only
        .address_space:  global
        .offset:         8
        .size:           8
        .value_kind:     global_buffer
      - .actual_access:  read_only
        .address_space:  global
        .offset:         16
        .size:           8
        .value_kind:     global_buffer
      - .actual_access:  read_only
        .address_space:  global
        .offset:         24
        .size:           8
        .value_kind:     global_buffer
      - .actual_access:  read_only
        .address_space:  global
        .offset:         32
        .size:           8
        .value_kind:     global_buffer
      - .offset:         40
        .size:           8
        .value_kind:     by_value
      - .address_space:  global
        .offset:         48
        .size:           8
        .value_kind:     global_buffer
      - .address_space:  global
        .offset:         56
        .size:           8
        .value_kind:     global_buffer
      - .address_space:  global
        .offset:         64
        .size:           8
        .value_kind:     global_buffer
      - .address_space:  global
        .offset:         72
        .size:           8
        .value_kind:     global_buffer
      - .offset:         80
        .size:           4
        .value_kind:     by_value
      - .address_space:  global
        .offset:         88
        .size:           8
        .value_kind:     global_buffer
      - .address_space:  global
        .offset:         96
        .size:           8
        .value_kind:     global_buffer
    .group_segment_fixed_size: 7744
    .kernarg_segment_align: 8
    .kernarg_segment_size: 104
    .language:       OpenCL C
    .language_version:
      - 2
      - 0
    .max_flat_workgroup_size: 176
    .name:           bluestein_single_fwd_len968_dim1_half_op_CI_CI
    .private_segment_fixed_size: 0
    .sgpr_count:     20
    .sgpr_spill_count: 0
    .symbol:         bluestein_single_fwd_len968_dim1_half_op_CI_CI.kd
    .uniform_work_group_size: 1
    .uses_dynamic_stack: false
    .vgpr_count:     216
    .vgpr_spill_count: 0
    .wavefront_size: 32
    .workgroup_processor_mode: 1
amdhsa.target:   amdgcn-amd-amdhsa--gfx1201
amdhsa.version:
  - 1
  - 2
...

	.end_amdgpu_metadata
